;; amdgpu-corpus repo=ROCm/rocFFT kind=compiled arch=gfx906 opt=O3
	.text
	.amdgcn_target "amdgcn-amd-amdhsa--gfx906"
	.amdhsa_code_object_version 6
	.protected	fft_rtc_fwd_len546_factors_13_3_7_2_wgs_117_tpt_39_halfLds_sp_op_CI_CI_unitstride_sbrr_R2C_dirReg ; -- Begin function fft_rtc_fwd_len546_factors_13_3_7_2_wgs_117_tpt_39_halfLds_sp_op_CI_CI_unitstride_sbrr_R2C_dirReg
	.globl	fft_rtc_fwd_len546_factors_13_3_7_2_wgs_117_tpt_39_halfLds_sp_op_CI_CI_unitstride_sbrr_R2C_dirReg
	.p2align	8
	.type	fft_rtc_fwd_len546_factors_13_3_7_2_wgs_117_tpt_39_halfLds_sp_op_CI_CI_unitstride_sbrr_R2C_dirReg,@function
fft_rtc_fwd_len546_factors_13_3_7_2_wgs_117_tpt_39_halfLds_sp_op_CI_CI_unitstride_sbrr_R2C_dirReg: ; @fft_rtc_fwd_len546_factors_13_3_7_2_wgs_117_tpt_39_halfLds_sp_op_CI_CI_unitstride_sbrr_R2C_dirReg
; %bb.0:
	s_load_dwordx4 s[8:11], s[4:5], 0x58
	s_load_dwordx4 s[12:15], s[4:5], 0x0
	;; [unrolled: 1-line block ×3, first 2 shown]
	v_mul_u32_u24_e32 v1, 0x691, v0
	v_lshrrev_b32_e32 v1, 16, v1
	v_mad_u64_u32 v[3:4], s[0:1], s6, 3, v[1:2]
	v_mov_b32_e32 v5, 0
	v_mov_b32_e32 v1, 0
	;; [unrolled: 1-line block ×3, first 2 shown]
	s_waitcnt lgkmcnt(0)
	v_cmp_lt_u64_e64 s[0:1], s[14:15], 2
	v_mov_b32_e32 v2, 0
	v_mov_b32_e32 v49, v2
	;; [unrolled: 1-line block ×3, first 2 shown]
	s_and_b64 vcc, exec, s[0:1]
	v_mov_b32_e32 v48, v1
	v_mov_b32_e32 v52, v3
	s_cbranch_vccnz .LBB0_8
; %bb.1:
	s_load_dwordx2 s[0:1], s[4:5], 0x10
	s_add_u32 s2, s18, 8
	s_addc_u32 s3, s19, 0
	s_add_u32 s6, s16, 8
	v_mov_b32_e32 v1, 0
	s_addc_u32 s7, s17, 0
	v_mov_b32_e32 v2, 0
	s_waitcnt lgkmcnt(0)
	s_add_u32 s20, s0, 8
	v_mov_b32_e32 v49, v2
	v_mov_b32_e32 v8, v4
	s_addc_u32 s21, s1, 0
	s_mov_b64 s[22:23], 1
	v_mov_b32_e32 v48, v1
	v_mov_b32_e32 v7, v3
.LBB0_2:                                ; =>This Inner Loop Header: Depth=1
	s_load_dwordx2 s[24:25], s[20:21], 0x0
                                        ; implicit-def: $vgpr52_vgpr53
	s_waitcnt lgkmcnt(0)
	v_or_b32_e32 v6, s25, v8
	v_cmp_ne_u64_e32 vcc, 0, v[5:6]
	s_and_saveexec_b64 s[0:1], vcc
	s_xor_b64 s[26:27], exec, s[0:1]
	s_cbranch_execz .LBB0_4
; %bb.3:                                ;   in Loop: Header=BB0_2 Depth=1
	v_cvt_f32_u32_e32 v4, s24
	v_cvt_f32_u32_e32 v6, s25
	s_sub_u32 s0, 0, s24
	s_subb_u32 s1, 0, s25
	v_mac_f32_e32 v4, 0x4f800000, v6
	v_rcp_f32_e32 v4, v4
	v_mul_f32_e32 v4, 0x5f7ffffc, v4
	v_mul_f32_e32 v6, 0x2f800000, v4
	v_trunc_f32_e32 v6, v6
	v_mac_f32_e32 v4, 0xcf800000, v6
	v_cvt_u32_f32_e32 v6, v6
	v_cvt_u32_f32_e32 v4, v4
	v_mul_lo_u32 v9, s0, v6
	v_mul_hi_u32 v10, s0, v4
	v_mul_lo_u32 v12, s1, v4
	v_mul_lo_u32 v11, s0, v4
	v_add_u32_e32 v9, v10, v9
	v_add_u32_e32 v9, v9, v12
	v_mul_hi_u32 v10, v4, v11
	v_mul_lo_u32 v12, v4, v9
	v_mul_hi_u32 v14, v4, v9
	v_mul_hi_u32 v13, v6, v11
	v_mul_lo_u32 v11, v6, v11
	v_mul_hi_u32 v15, v6, v9
	v_add_co_u32_e32 v10, vcc, v10, v12
	v_addc_co_u32_e32 v12, vcc, 0, v14, vcc
	v_mul_lo_u32 v9, v6, v9
	v_add_co_u32_e32 v10, vcc, v10, v11
	v_addc_co_u32_e32 v10, vcc, v12, v13, vcc
	v_addc_co_u32_e32 v11, vcc, 0, v15, vcc
	v_add_co_u32_e32 v9, vcc, v10, v9
	v_addc_co_u32_e32 v10, vcc, 0, v11, vcc
	v_add_co_u32_e32 v4, vcc, v4, v9
	v_addc_co_u32_e32 v6, vcc, v6, v10, vcc
	v_mul_lo_u32 v9, s0, v6
	v_mul_hi_u32 v10, s0, v4
	v_mul_lo_u32 v11, s1, v4
	v_mul_lo_u32 v12, s0, v4
	v_add_u32_e32 v9, v10, v9
	v_add_u32_e32 v9, v9, v11
	v_mul_lo_u32 v13, v4, v9
	v_mul_hi_u32 v14, v4, v12
	v_mul_hi_u32 v15, v4, v9
	;; [unrolled: 1-line block ×3, first 2 shown]
	v_mul_lo_u32 v12, v6, v12
	v_mul_hi_u32 v10, v6, v9
	v_add_co_u32_e32 v13, vcc, v14, v13
	v_addc_co_u32_e32 v14, vcc, 0, v15, vcc
	v_mul_lo_u32 v9, v6, v9
	v_add_co_u32_e32 v12, vcc, v13, v12
	v_addc_co_u32_e32 v11, vcc, v14, v11, vcc
	v_addc_co_u32_e32 v10, vcc, 0, v10, vcc
	v_add_co_u32_e32 v9, vcc, v11, v9
	v_addc_co_u32_e32 v10, vcc, 0, v10, vcc
	v_add_co_u32_e32 v4, vcc, v4, v9
	v_addc_co_u32_e32 v6, vcc, v6, v10, vcc
	v_mad_u64_u32 v[9:10], s[0:1], v7, v6, 0
	v_mul_hi_u32 v11, v7, v4
	v_add_co_u32_e32 v13, vcc, v11, v9
	v_addc_co_u32_e32 v14, vcc, 0, v10, vcc
	v_mad_u64_u32 v[9:10], s[0:1], v8, v4, 0
	v_mad_u64_u32 v[11:12], s[0:1], v8, v6, 0
	v_add_co_u32_e32 v4, vcc, v13, v9
	v_addc_co_u32_e32 v4, vcc, v14, v10, vcc
	v_addc_co_u32_e32 v6, vcc, 0, v12, vcc
	v_add_co_u32_e32 v4, vcc, v4, v11
	v_addc_co_u32_e32 v6, vcc, 0, v6, vcc
	v_mul_lo_u32 v11, s25, v4
	v_mul_lo_u32 v12, s24, v6
	v_mad_u64_u32 v[9:10], s[0:1], s24, v4, 0
	v_add3_u32 v10, v10, v12, v11
	v_sub_u32_e32 v11, v8, v10
	v_mov_b32_e32 v12, s25
	v_sub_co_u32_e32 v9, vcc, v7, v9
	v_subb_co_u32_e64 v11, s[0:1], v11, v12, vcc
	v_subrev_co_u32_e64 v12, s[0:1], s24, v9
	v_subbrev_co_u32_e64 v11, s[0:1], 0, v11, s[0:1]
	v_cmp_le_u32_e64 s[0:1], s25, v11
	v_cndmask_b32_e64 v13, 0, -1, s[0:1]
	v_cmp_le_u32_e64 s[0:1], s24, v12
	v_cndmask_b32_e64 v12, 0, -1, s[0:1]
	v_cmp_eq_u32_e64 s[0:1], s25, v11
	v_cndmask_b32_e64 v11, v13, v12, s[0:1]
	v_add_co_u32_e64 v12, s[0:1], 2, v4
	v_addc_co_u32_e64 v13, s[0:1], 0, v6, s[0:1]
	v_add_co_u32_e64 v14, s[0:1], 1, v4
	v_addc_co_u32_e64 v15, s[0:1], 0, v6, s[0:1]
	v_subb_co_u32_e32 v10, vcc, v8, v10, vcc
	v_cmp_ne_u32_e64 s[0:1], 0, v11
	v_cmp_le_u32_e32 vcc, s25, v10
	v_cndmask_b32_e64 v11, v15, v13, s[0:1]
	v_cndmask_b32_e64 v13, 0, -1, vcc
	v_cmp_le_u32_e32 vcc, s24, v9
	v_cndmask_b32_e64 v9, 0, -1, vcc
	v_cmp_eq_u32_e32 vcc, s25, v10
	v_cndmask_b32_e32 v9, v13, v9, vcc
	v_cmp_ne_u32_e32 vcc, 0, v9
	v_cndmask_b32_e32 v53, v6, v11, vcc
	v_cndmask_b32_e64 v6, v14, v12, s[0:1]
	v_cndmask_b32_e32 v52, v4, v6, vcc
.LBB0_4:                                ;   in Loop: Header=BB0_2 Depth=1
	s_andn2_saveexec_b64 s[0:1], s[26:27]
	s_cbranch_execz .LBB0_6
; %bb.5:                                ;   in Loop: Header=BB0_2 Depth=1
	v_cvt_f32_u32_e32 v4, s24
	s_sub_i32 s26, 0, s24
	v_mov_b32_e32 v53, v5
	v_rcp_iflag_f32_e32 v4, v4
	v_mul_f32_e32 v4, 0x4f7ffffe, v4
	v_cvt_u32_f32_e32 v4, v4
	v_mul_lo_u32 v6, s26, v4
	v_mul_hi_u32 v6, v4, v6
	v_add_u32_e32 v4, v4, v6
	v_mul_hi_u32 v4, v7, v4
	v_mul_lo_u32 v6, v4, s24
	v_add_u32_e32 v9, 1, v4
	v_sub_u32_e32 v6, v7, v6
	v_subrev_u32_e32 v10, s24, v6
	v_cmp_le_u32_e32 vcc, s24, v6
	v_cndmask_b32_e32 v6, v6, v10, vcc
	v_cndmask_b32_e32 v4, v4, v9, vcc
	v_add_u32_e32 v9, 1, v4
	v_cmp_le_u32_e32 vcc, s24, v6
	v_cndmask_b32_e32 v52, v4, v9, vcc
.LBB0_6:                                ;   in Loop: Header=BB0_2 Depth=1
	s_or_b64 exec, exec, s[0:1]
	v_mul_lo_u32 v4, v53, s24
	v_mul_lo_u32 v6, v52, s25
	v_mad_u64_u32 v[9:10], s[0:1], v52, s24, 0
	s_load_dwordx2 s[0:1], s[6:7], 0x0
	s_load_dwordx2 s[24:25], s[2:3], 0x0
	v_add3_u32 v4, v10, v6, v4
	v_sub_co_u32_e32 v6, vcc, v7, v9
	v_subb_co_u32_e32 v4, vcc, v8, v4, vcc
	s_waitcnt lgkmcnt(0)
	v_mul_lo_u32 v7, s0, v4
	v_mul_lo_u32 v8, s1, v6
	v_mad_u64_u32 v[1:2], s[0:1], s0, v6, v[1:2]
	s_add_u32 s22, s22, 1
	s_addc_u32 s23, s23, 0
	s_add_u32 s2, s2, 8
	v_mul_lo_u32 v4, s24, v4
	v_mul_lo_u32 v9, s25, v6
	v_mad_u64_u32 v[48:49], s[0:1], s24, v6, v[48:49]
	v_add3_u32 v2, v8, v2, v7
	s_addc_u32 s3, s3, 0
	v_mov_b32_e32 v6, s14
	s_add_u32 s6, s6, 8
	v_mov_b32_e32 v7, s15
	s_addc_u32 s7, s7, 0
	v_cmp_ge_u64_e32 vcc, s[22:23], v[6:7]
	s_add_u32 s20, s20, 8
	v_add3_u32 v49, v9, v49, v4
	s_addc_u32 s21, s21, 0
	s_cbranch_vccnz .LBB0_8
; %bb.7:                                ;   in Loop: Header=BB0_2 Depth=1
	v_mov_b32_e32 v7, v52
	v_mov_b32_e32 v8, v53
	s_branch .LBB0_2
.LBB0_8:
	s_mov_b32 s2, 0xaaaaaaab
	s_load_dwordx2 s[0:1], s[4:5], 0x28
	v_mul_hi_u32 v4, v3, s2
	s_lshl_b64 s[6:7], s[14:15], 3
	s_add_u32 s2, s18, s6
	s_addc_u32 s3, s19, s7
	v_lshrrev_b32_e32 v4, 1, v4
	v_lshl_add_u32 v4, v4, 1, v4
	s_waitcnt lgkmcnt(0)
	v_cmp_gt_u64_e32 vcc, s[0:1], v[52:53]
	v_cmp_le_u64_e64 s[0:1], s[0:1], v[52:53]
	v_sub_u32_e32 v3, v3, v4
                                        ; implicit-def: $vgpr50
                                        ; implicit-def: $vgpr54
	s_and_saveexec_b64 s[4:5], s[0:1]
	s_xor_b64 s[0:1], exec, s[4:5]
; %bb.9:
	s_mov_b32 s4, 0x6906907
	v_mul_hi_u32 v1, v0, s4
	v_mul_u32_u24_e32 v1, 39, v1
	v_sub_u32_e32 v50, v0, v1
	v_add_u32_e32 v54, 39, v50
                                        ; implicit-def: $vgpr0
                                        ; implicit-def: $vgpr1_vgpr2
; %bb.10:
	s_or_saveexec_b64 s[4:5], s[0:1]
	v_mul_u32_u24_e32 v65, 0x223, v3
	v_lshlrev_b32_e32 v51, 3, v65
	s_xor_b64 exec, exec, s[4:5]
	s_cbranch_execz .LBB0_12
; %bb.11:
	s_add_u32 s0, s16, s6
	s_addc_u32 s1, s17, s7
	s_load_dwordx2 s[0:1], s[0:1], 0x0
	s_mov_b32 s6, 0x6906907
	v_mul_hi_u32 v5, v0, s6
	s_waitcnt lgkmcnt(0)
	v_mul_lo_u32 v6, s1, v52
	v_mul_lo_u32 v7, s0, v53
	v_mad_u64_u32 v[3:4], s[0:1], s0, v52, 0
	v_mul_u32_u24_e32 v5, 39, v5
	v_sub_u32_e32 v50, v0, v5
	v_add3_u32 v4, v4, v7, v6
	v_lshlrev_b64 v[3:4], 3, v[3:4]
	v_mov_b32_e32 v0, s9
	v_add_co_u32_e64 v3, s[0:1], s8, v3
	v_addc_co_u32_e64 v4, s[0:1], v0, v4, s[0:1]
	v_lshlrev_b64 v[0:1], 3, v[1:2]
	v_lshlrev_b32_e32 v30, 3, v50
	v_add_co_u32_e64 v0, s[0:1], v3, v0
	v_addc_co_u32_e64 v1, s[0:1], v4, v1, s[0:1]
	v_add_co_u32_e64 v0, s[0:1], v0, v30
	v_addc_co_u32_e64 v1, s[0:1], 0, v1, s[0:1]
	global_load_dwordx2 v[2:3], v[0:1], off
	global_load_dwordx2 v[4:5], v[0:1], off offset:312
	global_load_dwordx2 v[6:7], v[0:1], off offset:624
	;; [unrolled: 1-line block ×13, first 2 shown]
	v_add_u32_e32 v54, 39, v50
	v_add3_u32 v0, 0, v51, v30
	v_add_u32_e32 v1, 0x400, v0
	v_add_u32_e32 v30, 0x800, v0
	s_waitcnt vmcnt(12)
	ds_write2_b64 v0, v[2:3], v[4:5] offset1:39
	s_waitcnt vmcnt(10)
	ds_write2_b64 v0, v[6:7], v[8:9] offset0:78 offset1:117
	s_waitcnt vmcnt(8)
	ds_write2_b64 v0, v[10:11], v[12:13] offset0:156 offset1:195
	;; [unrolled: 2-line block ×6, first 2 shown]
.LBB0_12:
	s_or_b64 exec, exec, s[4:5]
	v_lshlrev_b32_e32 v63, 3, v50
	v_add_u32_e32 v66, 0, v63
	v_add_u32_e32 v64, v66, v51
	;; [unrolled: 1-line block ×4, first 2 shown]
	s_load_dwordx2 s[2:3], s[2:3], 0x0
	s_waitcnt lgkmcnt(0)
	s_barrier
	v_add_u32_e32 v62, v61, v63
	ds_read2_b64 v[0:3], v64 offset0:39 offset1:42
	ds_read2_b64 v[44:47], v64 offset0:81 offset1:84
	;; [unrolled: 1-line block ×9, first 2 shown]
	ds_read_b64 v[59:60], v62
	ds_read2_b64 v[24:27], v67 offset0:161 offset1:164
	ds_read2_b64 v[32:35], v67 offset0:203 offset1:206
	;; [unrolled: 1-line block ×3, first 2 shown]
	ds_read_b64 v[57:58], v64 offset:4344
	s_waitcnt lgkmcnt(4)
	v_add_f32_e32 v55, v59, v2
	v_add_f32_e32 v56, v60, v3
	;; [unrolled: 1-line block ×17, first 2 shown]
	s_waitcnt lgkmcnt(1)
	v_add_f32_e32 v68, v42, v2
	v_sub_f32_e32 v2, v2, v42
	v_add_f32_e32 v56, v56, v19
	v_add_f32_e32 v55, v55, v26
	v_mul_f32_e32 v70, 0xbeedf032, v2
	v_mul_f32_e32 v74, 0xbf52af12, v2
	;; [unrolled: 1-line block ×6, first 2 shown]
	v_add_f32_e32 v56, v56, v27
	v_add_f32_e32 v55, v55, v34
	;; [unrolled: 1-line block ×3, first 2 shown]
	v_sub_f32_e32 v3, v3, v43
	s_mov_b32 s6, 0x3f62ad3f
	v_mov_b32_e32 v71, v70
	s_mov_b32 s7, 0x3f116cb1
	v_mov_b32_e32 v75, v74
	;; [unrolled: 2-line block ×6, first 2 shown]
	v_add_f32_e32 v56, v56, v35
	v_add_f32_e32 v55, v55, v42
	v_mul_f32_e32 v42, 0xbeedf032, v3
	v_fmac_f32_e32 v71, 0x3f62ad3f, v69
	v_fma_f32 v70, v69, s6, -v70
	v_mul_f32_e32 v72, 0xbf52af12, v3
	v_fmac_f32_e32 v75, 0x3f116cb1, v69
	v_fma_f32 v74, v69, s7, -v74
	;; [unrolled: 3-line block ×6, first 2 shown]
	v_add_f32_e32 v56, v56, v43
	v_fma_f32 v43, v68, s6, -v42
	v_add_f32_e32 v71, v60, v71
	v_fmac_f32_e32 v42, 0x3f62ad3f, v68
	v_add_f32_e32 v70, v60, v70
	v_fma_f32 v73, v68, s7, -v72
	v_add_f32_e32 v75, v60, v75
	v_fmac_f32_e32 v72, 0x3f116cb1, v68
	;; [unrolled: 4-line block ×6, first 2 shown]
	v_add_f32_e32 v2, v60, v2
	v_add_f32_e32 v60, v35, v47
	v_sub_f32_e32 v35, v47, v35
	v_add_f32_e32 v43, v59, v43
	v_add_f32_e32 v42, v59, v42
	;; [unrolled: 1-line block ×13, first 2 shown]
	v_sub_f32_e32 v34, v46, v34
	v_mul_f32_e32 v46, 0xbf52af12, v35
	v_fma_f32 v47, v59, s7, -v46
	v_add_f32_e32 v43, v47, v43
	v_mul_f32_e32 v47, 0xbf52af12, v34
	v_fmac_f32_e32 v46, 0x3f116cb1, v59
	v_mov_b32_e32 v68, v47
	v_add_f32_e32 v42, v46, v42
	v_fma_f32 v46, v60, s7, -v47
	v_mul_f32_e32 v47, 0xbf6f5d39, v35
	v_fma_f32 v69, v59, s9, -v47
	v_fmac_f32_e32 v47, 0xbeb58ec6, v59
	v_fmac_f32_e32 v68, 0x3f116cb1, v60
	v_add_f32_e32 v46, v46, v70
	v_mul_f32_e32 v70, 0xbf6f5d39, v34
	v_add_f32_e32 v47, v47, v72
	v_mul_f32_e32 v72, 0xbe750f2a, v35
	v_add_f32_e32 v68, v68, v71
	v_add_f32_e32 v69, v69, v73
	v_mov_b32_e32 v71, v70
	v_fma_f32 v70, v60, s9, -v70
	v_fma_f32 v73, v59, s15, -v72
	v_fmac_f32_e32 v72, 0xbf788fa5, v59
	v_fmac_f32_e32 v71, 0xbeb58ec6, v60
	v_add_f32_e32 v70, v70, v74
	v_mul_f32_e32 v74, 0xbe750f2a, v34
	v_add_f32_e32 v72, v72, v76
	v_mul_f32_e32 v76, 0x3f29c268, v35
	v_add_f32_e32 v71, v71, v75
	v_add_f32_e32 v73, v73, v77
	v_mov_b32_e32 v75, v74
	v_fma_f32 v74, v60, s15, -v74
	;; [unrolled: 11-line block ×3, first 2 shown]
	v_fma_f32 v81, v59, s8, -v80
	v_fmac_f32_e32 v80, 0x3df6dbef, v59
	v_mul_f32_e32 v35, 0x3eedf032, v35
	v_add_f32_e32 v78, v78, v82
	v_mul_f32_e32 v82, 0x3f7e222b, v34
	v_add_f32_e32 v80, v80, v84
	v_fma_f32 v84, v59, s6, -v35
	v_mul_f32_e32 v34, 0x3eedf032, v34
	v_fmac_f32_e32 v35, 0x3f62ad3f, v59
	v_add_f32_e32 v81, v81, v85
	v_mov_b32_e32 v85, v34
	v_add_f32_e32 v3, v35, v3
	v_fma_f32 v34, v60, s6, -v34
	v_add_f32_e32 v35, v27, v39
	v_sub_f32_e32 v27, v39, v27
	v_add_f32_e32 v2, v34, v2
	v_add_f32_e32 v34, v26, v38
	v_sub_f32_e32 v26, v38, v26
	v_mul_f32_e32 v38, 0xbf7e222b, v27
	v_fma_f32 v39, v34, s8, -v38
	v_fmac_f32_e32 v79, 0xbf3f9e67, v60
	v_add_f32_e32 v39, v39, v43
	v_mul_f32_e32 v43, 0xbf7e222b, v26
	v_fmac_f32_e32 v38, 0x3df6dbef, v34
	v_add_f32_e32 v79, v79, v83
	v_mov_b32_e32 v83, v82
	v_mov_b32_e32 v59, v43
	v_add_f32_e32 v38, v38, v42
	v_fma_f32 v42, v35, s8, -v43
	v_mul_f32_e32 v43, 0xbe750f2a, v27
	v_fmac_f32_e32 v83, 0x3df6dbef, v60
	v_fma_f32 v82, v60, s8, -v82
	v_fmac_f32_e32 v85, 0x3f62ad3f, v60
	v_fmac_f32_e32 v59, 0x3df6dbef, v35
	v_add_f32_e32 v42, v42, v46
	v_fma_f32 v46, v34, s15, -v43
	v_mul_f32_e32 v60, 0xbe750f2a, v26
	v_fmac_f32_e32 v43, 0xbf788fa5, v34
	v_add_f32_e32 v59, v59, v68
	v_mov_b32_e32 v68, v60
	v_add_f32_e32 v43, v43, v47
	v_fma_f32 v47, v35, s15, -v60
	v_mul_f32_e32 v60, 0x3f6f5d39, v27
	v_add_f32_e32 v46, v46, v69
	v_fma_f32 v69, v34, s9, -v60
	v_fmac_f32_e32 v60, 0xbeb58ec6, v34
	v_fmac_f32_e32 v68, 0xbf788fa5, v35
	v_add_f32_e32 v47, v47, v70
	v_mul_f32_e32 v70, 0x3f6f5d39, v26
	v_add_f32_e32 v60, v60, v72
	v_mul_f32_e32 v72, 0x3eedf032, v27
	v_add_f32_e32 v68, v68, v71
	v_add_f32_e32 v69, v69, v73
	v_mov_b32_e32 v71, v70
	v_fma_f32 v70, v35, s9, -v70
	v_fma_f32 v73, v34, s6, -v72
	v_fmac_f32_e32 v72, 0x3f62ad3f, v34
	v_fmac_f32_e32 v71, 0xbeb58ec6, v35
	v_add_f32_e32 v70, v70, v74
	v_mul_f32_e32 v74, 0x3eedf032, v26
	v_add_f32_e32 v72, v72, v76
	v_mul_f32_e32 v76, 0xbf52af12, v27
	v_add_f32_e32 v71, v71, v75
	v_add_f32_e32 v73, v73, v77
	v_mov_b32_e32 v75, v74
	v_fma_f32 v74, v35, s6, -v74
	v_fma_f32 v77, v34, s7, -v76
	v_fmac_f32_e32 v76, 0x3f116cb1, v34
	v_mul_f32_e32 v27, 0xbf29c268, v27
	v_add_f32_e32 v74, v74, v78
	v_mul_f32_e32 v78, 0xbf52af12, v26
	v_add_f32_e32 v76, v76, v80
	v_fma_f32 v80, v34, s14, -v27
	v_mul_f32_e32 v26, 0xbf29c268, v26
	v_fmac_f32_e32 v27, 0xbf3f9e67, v34
	v_add_f32_e32 v77, v77, v81
	v_mov_b32_e32 v81, v26
	v_add_f32_e32 v3, v27, v3
	v_fma_f32 v26, v35, s14, -v26
	v_add_f32_e32 v27, v19, v31
	v_sub_f32_e32 v19, v31, v19
	v_fmac_f32_e32 v75, 0x3f62ad3f, v35
	v_add_f32_e32 v2, v26, v2
	v_add_f32_e32 v26, v18, v30
	v_sub_f32_e32 v18, v30, v18
	v_mul_f32_e32 v30, 0xbf6f5d39, v19
	v_add_f32_e32 v75, v75, v79
	v_mov_b32_e32 v79, v78
	v_fma_f32 v31, v26, s9, -v30
	v_mul_f32_e32 v34, 0xbf6f5d39, v18
	v_fmac_f32_e32 v30, 0xbeb58ec6, v26
	v_fmac_f32_e32 v79, 0x3f116cb1, v35
	v_fma_f32 v78, v35, s7, -v78
	v_fmac_f32_e32 v81, 0xbf3f9e67, v35
	v_mov_b32_e32 v35, v34
	v_add_f32_e32 v30, v30, v38
	v_fma_f32 v34, v27, s9, -v34
	v_mul_f32_e32 v38, 0x3f29c268, v19
	v_add_f32_e32 v31, v31, v39
	v_add_f32_e32 v34, v34, v42
	v_fma_f32 v39, v26, s14, -v38
	v_mul_f32_e32 v42, 0x3f29c268, v18
	v_fmac_f32_e32 v38, 0xbf3f9e67, v26
	v_fmac_f32_e32 v35, 0xbeb58ec6, v27
	v_add_f32_e32 v39, v39, v46
	v_mov_b32_e32 v46, v42
	v_add_f32_e32 v38, v38, v43
	v_fma_f32 v42, v27, s14, -v42
	v_mul_f32_e32 v43, 0x3eedf032, v19
	v_add_f32_e32 v35, v35, v59
	v_fmac_f32_e32 v46, 0xbf3f9e67, v27
	v_add_f32_e32 v42, v42, v47
	v_fma_f32 v47, v26, s6, -v43
	v_mul_f32_e32 v59, 0x3eedf032, v18
	v_fmac_f32_e32 v43, 0x3f62ad3f, v26
	v_add_f32_e32 v46, v46, v68
	v_mov_b32_e32 v68, v59
	v_add_f32_e32 v43, v43, v60
	v_fma_f32 v59, v27, s6, -v59
	v_mul_f32_e32 v60, 0xbf7e222b, v19
	v_add_f32_e32 v47, v47, v69
	v_fmac_f32_e32 v68, 0x3f62ad3f, v27
	v_add_f32_e32 v59, v59, v70
	v_fma_f32 v69, v26, s8, -v60
	v_mul_f32_e32 v70, 0xbf7e222b, v18
	v_fmac_f32_e32 v60, 0x3df6dbef, v26
	v_add_f32_e32 v68, v68, v71
	v_mov_b32_e32 v71, v70
	v_add_f32_e32 v60, v60, v72
	v_fma_f32 v70, v27, s8, -v70
	v_mul_f32_e32 v72, 0x3e750f2a, v19
	v_add_f32_e32 v69, v69, v73
	v_add_f32_e32 v70, v70, v74
	v_fma_f32 v73, v26, s15, -v72
	v_mul_f32_e32 v74, 0x3e750f2a, v18
	v_mul_f32_e32 v18, 0x3f52af12, v18
	v_add_f32_e32 v73, v73, v77
	v_fmac_f32_e32 v72, 0xbf788fa5, v26
	v_mul_f32_e32 v19, 0x3f52af12, v19
	v_mov_b32_e32 v77, v18
	v_fma_f32 v18, v27, s7, -v18
	v_fmac_f32_e32 v71, 0x3df6dbef, v27
	v_add_f32_e32 v72, v72, v76
	v_fma_f32 v76, v26, s7, -v19
	v_fmac_f32_e32 v19, 0x3f116cb1, v26
	v_add_f32_e32 v2, v18, v2
	v_add_f32_e32 v18, v10, v22
	v_sub_f32_e32 v10, v22, v10
	v_add_f32_e32 v71, v71, v75
	v_mov_b32_e32 v75, v74
	v_add_f32_e32 v3, v19, v3
	v_add_f32_e32 v19, v11, v23
	v_sub_f32_e32 v11, v23, v11
	v_mul_f32_e32 v26, 0xbf29c268, v10
	v_fmac_f32_e32 v75, 0xbf788fa5, v27
	v_fma_f32 v74, v27, s15, -v74
	v_fmac_f32_e32 v77, 0x3f116cb1, v27
	v_mul_f32_e32 v22, 0xbf29c268, v11
	v_mov_b32_e32 v27, v26
	v_fma_f32 v26, v19, s14, -v26
	v_fma_f32 v23, v18, s14, -v22
	v_fmac_f32_e32 v27, 0xbf3f9e67, v19
	v_fmac_f32_e32 v22, 0xbf3f9e67, v18
	v_add_f32_e32 v26, v26, v34
	v_mul_f32_e32 v34, 0x3f7e222b, v10
	v_add_f32_e32 v27, v27, v35
	v_add_f32_e32 v22, v22, v30
	v_mul_f32_e32 v30, 0x3f7e222b, v11
	v_mov_b32_e32 v35, v34
	v_fma_f32 v34, v19, s8, -v34
	v_add_f32_e32 v23, v23, v31
	v_fma_f32 v31, v18, s8, -v30
	v_fmac_f32_e32 v35, 0x3df6dbef, v19
	v_fmac_f32_e32 v30, 0x3df6dbef, v18
	v_add_f32_e32 v34, v34, v42
	v_mul_f32_e32 v42, 0xbf52af12, v10
	v_add_f32_e32 v35, v35, v46
	v_add_f32_e32 v30, v30, v38
	v_mul_f32_e32 v38, 0xbf52af12, v11
	v_mov_b32_e32 v46, v42
	v_add_f32_e32 v31, v31, v39
	v_fma_f32 v39, v18, s7, -v38
	v_fmac_f32_e32 v46, 0x3f116cb1, v19
	v_fma_f32 v42, v19, s7, -v42
	v_add_f32_e32 v39, v39, v47
	v_add_f32_e32 v47, v46, v68
	v_fmac_f32_e32 v38, 0x3f116cb1, v18
	v_add_f32_e32 v68, v42, v59
	v_mul_f32_e32 v42, 0x3e750f2a, v11
	v_add_f32_e32 v82, v82, v86
	v_add_f32_e32 v38, v38, v43
	v_fma_f32 v43, v18, s15, -v42
	v_add_f32_e32 v78, v78, v82
	v_add_f32_e32 v69, v43, v69
	v_mul_f32_e32 v43, 0x3e750f2a, v10
	v_fmac_f32_e32 v42, 0xbf788fa5, v18
	v_add_f32_e32 v74, v74, v78
	v_add_f32_e32 v78, v42, v60
	v_fma_f32 v42, v19, s15, -v43
	v_add_f32_e32 v70, v42, v70
	v_mul_f32_e32 v42, 0x3eedf032, v11
	v_mov_b32_e32 v46, v43
	v_fma_f32 v43, v18, s6, -v42
	v_add_f32_e32 v73, v43, v73
	v_mul_f32_e32 v43, 0x3eedf032, v10
	v_fmac_f32_e32 v42, 0x3f62ad3f, v18
	v_add_f32_e32 v83, v83, v87
	v_add_f32_e32 v72, v42, v72
	v_fma_f32 v42, v19, s6, -v43
	v_mul_f32_e32 v11, 0xbf6f5d39, v11
	v_add_f32_e32 v84, v84, v88
	v_add_f32_e32 v85, v85, v89
	;; [unrolled: 1-line block ×4, first 2 shown]
	v_fma_f32 v42, v18, s9, -v11
	v_mul_f32_e32 v10, 0xbf6f5d39, v10
	v_fmac_f32_e32 v11, 0xbeb58ec6, v18
	v_add_f32_e32 v80, v80, v84
	v_add_f32_e32 v81, v81, v85
	;; [unrolled: 1-line block ×4, first 2 shown]
	v_fma_f32 v3, v19, s9, -v10
	v_sub_f32_e32 v84, v15, v7
	v_add_f32_e32 v76, v76, v80
	v_add_f32_e32 v77, v77, v81
	;; [unrolled: 1-line block ×4, first 2 shown]
	v_mul_f32_e32 v2, 0xbe750f2a, v84
	v_sub_f32_e32 v83, v14, v6
	v_fma_f32 v3, v81, s15, -v2
	v_add_f32_e32 v59, v3, v23
	v_mul_f32_e32 v3, 0xbe750f2a, v83
	v_add_f32_e32 v82, v7, v15
	v_mov_b32_e32 v6, v3
	v_fmac_f32_e32 v6, 0xbf788fa5, v82
	v_add_f32_e32 v76, v42, v76
	v_mov_b32_e32 v42, v10
	v_add_f32_e32 v60, v6, v27
	v_mul_f32_e32 v6, 0x3eedf032, v84
	v_fmac_f32_e32 v42, 0xbeb58ec6, v19
	v_fma_f32 v7, v81, s6, -v6
	v_add_f32_e32 v77, v42, v77
	v_add_f32_e32 v42, v7, v31
	v_mul_f32_e32 v7, 0x3eedf032, v83
	v_mov_b32_e32 v10, v7
	v_fmac_f32_e32 v46, 0xbf788fa5, v19
	v_fmac_f32_e32 v10, 0x3f62ad3f, v82
	v_add_f32_e32 v71, v46, v71
	v_mov_b32_e32 v46, v43
	v_add_f32_e32 v43, v10, v35
	v_mul_f32_e32 v10, 0xbf29c268, v84
	v_fmac_f32_e32 v46, 0x3f62ad3f, v19
	v_fma_f32 v11, v81, s14, -v10
	v_add_f32_e32 v75, v46, v75
	v_add_f32_e32 v46, v11, v39
	v_mul_f32_e32 v11, 0xbf29c268, v83
	v_mov_b32_e32 v14, v11
	v_fmac_f32_e32 v14, 0xbf3f9e67, v82
	v_add_f32_e32 v47, v14, v47
	v_mul_f32_e32 v14, 0x3f52af12, v84
	v_fma_f32 v7, v82, s6, -v7
	v_fma_f32 v15, v81, s7, -v14
	v_add_f32_e32 v7, v7, v34
	v_add_f32_e32 v34, v15, v69
	v_mul_f32_e32 v15, 0x3f52af12, v83
	v_mov_b32_e32 v18, v15
	v_fmac_f32_e32 v18, 0x3f116cb1, v82
	v_add_f32_e32 v35, v18, v71
	v_mul_f32_e32 v18, 0xbf6f5d39, v84
	v_fmac_f32_e32 v10, 0xbf3f9e67, v81
	v_fma_f32 v19, v81, s9, -v18
	v_fmac_f32_e32 v2, 0xbf788fa5, v81
	v_add_f32_e32 v10, v10, v38
	v_add_f32_e32 v38, v19, v73
	v_mul_f32_e32 v19, 0xbf6f5d39, v83
	v_add_f32_e32 v2, v2, v22
	v_fma_f32 v3, v82, s15, -v3
	v_mov_b32_e32 v22, v19
	v_add_f32_e32 v3, v3, v26
	v_fmac_f32_e32 v22, 0xbeb58ec6, v82
	v_mul_f32_e32 v26, 0x3f7e222b, v84
	v_fmac_f32_e32 v6, 0x3f62ad3f, v81
	v_add_f32_e32 v39, v22, v75
	v_fma_f32 v22, v81, s8, -v26
	v_mul_f32_e32 v27, 0x3f7e222b, v83
	v_fmac_f32_e32 v26, 0x3df6dbef, v81
	v_add_f32_e32 v6, v6, v30
	v_add_f32_e32 v30, v26, v79
	v_fma_f32 v26, v82, s8, -v27
	v_add_f32_e32 v31, v26, v80
	v_add_f32_e32 v26, v0, v44
	;; [unrolled: 1-line block ×4, first 2 shown]
	v_mov_b32_e32 v23, v27
	v_add_f32_e32 v27, v1, v45
	v_add_f32_e32 v26, v26, v20
	;; [unrolled: 1-line block ×6, first 2 shown]
	v_fmac_f32_e32 v18, 0xbeb58ec6, v81
	v_add_f32_e32 v27, v27, v21
	v_add_f32_e32 v26, v26, v8
	v_fma_f32 v11, v82, s14, -v11
	v_add_f32_e32 v18, v18, v72
	v_add_f32_e32 v27, v27, v13
	;; [unrolled: 1-line block ×3, first 2 shown]
	s_waitcnt lgkmcnt(0)
	v_sub_f32_e32 v72, v45, v58
	v_add_f32_e32 v11, v11, v68
	v_add_f32_e32 v27, v27, v5
	;; [unrolled: 1-line block ×4, first 2 shown]
	v_sub_f32_e32 v73, v44, v57
	v_mul_f32_e32 v44, 0xbeedf032, v72
	v_fma_f32 v15, v82, s7, -v15
	v_add_f32_e32 v27, v27, v9
	v_add_f32_e32 v26, v26, v32
	;; [unrolled: 1-line block ×3, first 2 shown]
	v_fma_f32 v45, v68, s6, -v44
	v_add_f32_e32 v15, v15, v70
	v_add_f32_e32 v27, v27, v17
	;; [unrolled: 1-line block ×4, first 2 shown]
	v_mul_f32_e32 v45, 0x3f62ad3f, v69
	v_fma_f32 v19, v82, s9, -v19
	v_add_f32_e32 v27, v27, v25
	v_add_f32_e32 v26, v26, v57
	v_mov_b32_e32 v57, v45
	v_add_f32_e32 v19, v19, v74
	v_add_f32_e32 v27, v27, v33
	v_fmac_f32_e32 v57, 0xbeedf032, v73
	v_sub_f32_e32 v74, v37, v41
	v_add_f32_e32 v22, v22, v76
	v_add_f32_e32 v27, v27, v41
	;; [unrolled: 1-line block ×4, first 2 shown]
	v_sub_f32_e32 v76, v36, v40
	v_mul_f32_e32 v36, 0xbf52af12, v74
	v_add_f32_e32 v27, v27, v58
	v_add_f32_e32 v58, v41, v37
	v_fma_f32 v37, v57, s7, -v36
	v_add_f32_e32 v70, v37, v70
	v_mul_f32_e32 v37, 0x3f116cb1, v58
	v_mov_b32_e32 v40, v37
	v_fmac_f32_e32 v23, 0x3df6dbef, v82
	v_fmac_f32_e32 v40, 0xbf52af12, v76
	v_add_f32_e32 v41, v33, v29
	v_sub_f32_e32 v75, v29, v33
	v_fmac_f32_e32 v14, 0x3f116cb1, v81
	v_add_f32_e32 v23, v23, v77
	v_add_f32_e32 v71, v40, v71
	;; [unrolled: 1-line block ×3, first 2 shown]
	v_sub_f32_e32 v77, v28, v32
	v_mul_f32_e32 v32, 0xbf7e222b, v75
	v_mul_f32_e32 v33, 0x3df6dbef, v41
	v_add_f32_e32 v14, v14, v78
	v_fma_f32 v28, v40, s8, -v32
	v_mov_b32_e32 v29, v33
	v_sub_f32_e32 v78, v21, v25
	v_add_f32_e32 v28, v28, v70
	v_fmac_f32_e32 v29, 0xbf7e222b, v77
	v_add_f32_e32 v70, v24, v20
	v_sub_f32_e32 v81, v20, v24
	v_mul_f32_e32 v20, 0xbf6f5d39, v78
	v_add_f32_e32 v29, v29, v71
	v_add_f32_e32 v71, v25, v21
	v_fma_f32 v21, v70, s9, -v20
	v_add_f32_e32 v28, v21, v28
	v_mul_f32_e32 v21, 0xbeb58ec6, v71
	v_mov_b32_e32 v24, v21
	v_fmac_f32_e32 v24, 0xbf6f5d39, v81
	v_sub_f32_e32 v80, v13, v17
	v_add_f32_e32 v29, v24, v29
	v_add_f32_e32 v24, v16, v12
	v_sub_f32_e32 v79, v12, v16
	v_mul_f32_e32 v12, 0xbf29c268, v80
	v_add_f32_e32 v25, v17, v13
	v_fma_f32 v13, v24, s14, -v12
	v_add_f32_e32 v28, v13, v28
	v_mul_f32_e32 v13, 0xbf3f9e67, v25
	v_mov_b32_e32 v16, v13
	v_fmac_f32_e32 v16, 0xbf29c268, v79
	v_add_f32_e32 v17, v9, v5
	v_sub_f32_e32 v9, v5, v9
	v_add_f32_e32 v29, v16, v29
	v_add_f32_e32 v16, v8, v4
	v_sub_f32_e32 v8, v4, v8
	v_mul_f32_e32 v4, 0xbe750f2a, v9
	v_fma_f32 v5, v16, s15, -v4
	v_add_f32_e32 v28, v5, v28
	v_mul_f32_e32 v5, 0xbf788fa5, v17
	v_mov_b32_e32 v82, v5
	v_fmac_f32_e32 v82, 0xbe750f2a, v8
	s_movk_i32 s0, 0x68
	v_add_f32_e32 v29, v82, v29
	v_mad_u32_u24 v82, v50, s0, v61
	v_cmp_gt_u32_e64 s[0:1], 3, v50
	s_barrier
	ds_write2_b64 v82, v[55:56], v[59:60] offset1:1
	ds_write2_b64 v82, v[42:43], v[46:47] offset0:2 offset1:3
	ds_write2_b64 v82, v[34:35], v[38:39] offset0:4 offset1:5
	;; [unrolled: 1-line block ×5, first 2 shown]
	ds_write_b64 v82, v[2:3] offset:96
	s_and_saveexec_b64 s[4:5], s[0:1]
	s_cbranch_execz .LBB0_14
; %bb.13:
	v_mul_f32_e32 v30, 0xbe750f2a, v73
	v_mov_b32_e32 v6, v30
	v_mul_f32_e32 v31, 0x3eedf032, v76
	v_fmac_f32_e32 v6, 0xbf788fa5, v69
	v_mov_b32_e32 v7, v31
	v_add_f32_e32 v6, v1, v6
	v_fmac_f32_e32 v7, 0x3f62ad3f, v58
	v_mul_f32_e32 v34, 0xbf29c268, v77
	v_add_f32_e32 v6, v7, v6
	v_mov_b32_e32 v7, v34
	v_fmac_f32_e32 v7, 0xbf3f9e67, v41
	v_mul_f32_e32 v35, 0x3f52af12, v81
	v_add_f32_e32 v6, v7, v6
	v_mov_b32_e32 v7, v35
	v_fmac_f32_e32 v7, 0x3f116cb1, v71
	v_mul_f32_e32 v38, 0xbf6f5d39, v79
	v_add_f32_e32 v6, v7, v6
	v_mov_b32_e32 v7, v38
	v_fmac_f32_e32 v7, 0xbeb58ec6, v25
	v_mul_f32_e32 v39, 0x3f7e222b, v8
	v_add_f32_e32 v6, v7, v6
	v_mov_b32_e32 v7, v39
	v_fmac_f32_e32 v7, 0x3df6dbef, v17
	v_mul_f32_e32 v82, 0xbe750f2a, v72
	v_add_f32_e32 v7, v7, v6
	v_fma_f32 v6, v68, s15, -v82
	v_mul_f32_e32 v83, 0x3eedf032, v74
	v_add_f32_e32 v6, v0, v6
	v_fma_f32 v10, v57, s6, -v83
	v_mul_f32_e32 v84, 0xbf29c268, v75
	v_add_f32_e32 v6, v10, v6
	v_fma_f32 v10, v40, s14, -v84
	v_mul_f32_e32 v85, 0x3f52af12, v78
	v_add_f32_e32 v6, v10, v6
	v_fma_f32 v10, v70, s7, -v85
	v_mul_f32_e32 v86, 0xbf6f5d39, v80
	v_add_f32_e32 v6, v10, v6
	v_fma_f32 v10, v24, s9, -v86
	v_mul_f32_e32 v87, 0x3f7e222b, v9
	v_add_f32_e32 v6, v10, v6
	v_fma_f32 v10, v16, s8, -v87
	v_mul_f32_e32 v88, 0xbf29c268, v73
	v_add_f32_e32 v6, v10, v6
	v_mov_b32_e32 v10, v88
	v_mul_f32_e32 v89, 0x3f7e222b, v76
	v_fmac_f32_e32 v10, 0xbf3f9e67, v69
	v_mov_b32_e32 v11, v89
	v_add_f32_e32 v10, v1, v10
	v_fmac_f32_e32 v11, 0x3df6dbef, v58
	v_mul_f32_e32 v90, 0xbf52af12, v77
	v_add_f32_e32 v10, v11, v10
	v_mov_b32_e32 v11, v90
	v_fmac_f32_e32 v11, 0x3f116cb1, v41
	v_mul_f32_e32 v91, 0x3e750f2a, v81
	v_add_f32_e32 v10, v11, v10
	v_mov_b32_e32 v11, v91
	v_fmac_f32_e32 v11, 0xbf788fa5, v71
	v_mul_f32_e32 v92, 0x3eedf032, v79
	v_add_f32_e32 v10, v11, v10
	v_mov_b32_e32 v11, v92
	v_fmac_f32_e32 v11, 0x3f62ad3f, v25
	v_mul_f32_e32 v93, 0xbf6f5d39, v8
	v_add_f32_e32 v10, v11, v10
	v_mov_b32_e32 v11, v93
	v_fmac_f32_e32 v11, 0xbeb58ec6, v17
	v_mul_f32_e32 v94, 0xbf29c268, v72
	v_add_f32_e32 v11, v11, v10
	v_fma_f32 v10, v68, s14, -v94
	v_mul_f32_e32 v95, 0x3f7e222b, v74
	v_add_f32_e32 v10, v0, v10
	v_fma_f32 v14, v57, s8, -v95
	v_mul_f32_e32 v96, 0xbf52af12, v75
	v_add_f32_e32 v10, v14, v10
	v_fma_f32 v14, v40, s7, -v96
	v_mul_f32_e32 v97, 0x3e750f2a, v78
	v_add_f32_e32 v10, v14, v10
	v_fma_f32 v14, v70, s15, -v97
	v_mul_f32_e32 v98, 0x3eedf032, v80
	v_add_f32_e32 v10, v14, v10
	v_fma_f32 v14, v24, s6, -v98
	v_mul_f32_e32 v99, 0xbf6f5d39, v9
	v_add_f32_e32 v10, v14, v10
	v_fma_f32 v14, v16, s9, -v99
	v_mul_f32_e32 v100, 0xbf6f5d39, v73
	v_add_f32_e32 v10, v14, v10
	v_mov_b32_e32 v14, v100
	v_mul_f32_e32 v101, 0x3f29c268, v76
	v_fmac_f32_e32 v14, 0xbeb58ec6, v69
	v_mov_b32_e32 v15, v101
	v_add_f32_e32 v14, v1, v14
	v_fmac_f32_e32 v15, 0xbf3f9e67, v58
	v_mul_f32_e32 v102, 0x3eedf032, v77
	v_add_f32_e32 v14, v15, v14
	v_mov_b32_e32 v15, v102
	v_fmac_f32_e32 v15, 0x3f62ad3f, v41
	v_mul_f32_e32 v103, 0xbf7e222b, v81
	v_add_f32_e32 v14, v15, v14
	v_mov_b32_e32 v15, v103
	v_fmac_f32_e32 v15, 0x3df6dbef, v71
	v_mul_f32_e32 v104, 0x3e750f2a, v79
	v_add_f32_e32 v14, v15, v14
	v_mov_b32_e32 v15, v104
	v_fmac_f32_e32 v15, 0xbf788fa5, v25
	v_mul_f32_e32 v105, 0x3f52af12, v8
	v_add_f32_e32 v14, v15, v14
	v_mov_b32_e32 v15, v105
	v_fmac_f32_e32 v15, 0x3f116cb1, v17
	v_mul_f32_e32 v106, 0xbf6f5d39, v72
	v_add_f32_e32 v15, v15, v14
	v_fma_f32 v14, v68, s9, -v106
	v_mul_f32_e32 v107, 0x3f29c268, v74
	v_add_f32_e32 v14, v0, v14
	v_fma_f32 v18, v57, s14, -v107
	v_mul_f32_e32 v108, 0x3eedf032, v75
	v_add_f32_e32 v14, v18, v14
	v_fma_f32 v18, v40, s6, -v108
	v_mul_f32_e32 v109, 0xbf7e222b, v78
	v_add_f32_e32 v14, v18, v14
	v_fma_f32 v18, v70, s8, -v109
	v_mul_f32_e32 v110, 0x3e750f2a, v80
	v_add_f32_e32 v14, v18, v14
	v_fma_f32 v18, v24, s15, -v110
	v_mul_f32_e32 v111, 0x3f52af12, v9
	v_add_f32_e32 v14, v18, v14
	v_fma_f32 v18, v16, s7, -v111
	v_mul_f32_e32 v112, 0xbf7e222b, v73
	v_add_f32_e32 v14, v18, v14
	v_mov_b32_e32 v18, v112
	v_mul_f32_e32 v113, 0xbe750f2a, v76
	v_fmac_f32_e32 v18, 0x3df6dbef, v69
	v_mov_b32_e32 v19, v113
	v_add_f32_e32 v18, v1, v18
	v_fmac_f32_e32 v19, 0xbf788fa5, v58
	v_mul_f32_e32 v114, 0x3f6f5d39, v77
	v_add_f32_e32 v18, v19, v18
	v_mov_b32_e32 v19, v114
	v_fmac_f32_e32 v19, 0xbeb58ec6, v41
	v_mul_f32_e32 v115, 0x3eedf032, v81
	v_add_f32_e32 v18, v19, v18
	v_mov_b32_e32 v19, v115
	;; [unrolled: 4-line block ×4, first 2 shown]
	v_fmac_f32_e32 v19, 0xbf3f9e67, v17
	v_mul_f32_e32 v118, 0xbf7e222b, v72
	v_add_f32_e32 v19, v19, v18
	v_fma_f32 v18, v68, s8, -v118
	v_mul_f32_e32 v119, 0xbe750f2a, v74
	v_add_f32_e32 v18, v0, v18
	v_fma_f32 v22, v57, s15, -v119
	;; [unrolled: 3-line block ×5, first 2 shown]
	v_mul_f32_e32 v123, 0xbf29c268, v9
	v_mul_f32_e32 v43, 0xbeedf032, v73
	v_add_f32_e32 v18, v22, v18
	v_fma_f32 v22, v16, s14, -v123
	v_mul_f32_e32 v73, 0xbf52af12, v73
	v_mul_f32_e32 v47, 0xbf52af12, v76
	v_add_f32_e32 v18, v22, v18
	v_mov_b32_e32 v22, v73
	v_mul_f32_e32 v76, 0xbf6f5d39, v76
	v_fmac_f32_e32 v22, 0x3f116cb1, v69
	v_mov_b32_e32 v23, v76
	v_mul_f32_e32 v56, 0xbf7e222b, v77
	v_add_f32_e32 v22, v1, v22
	v_fmac_f32_e32 v23, 0xbeb58ec6, v58
	v_mul_f32_e32 v77, 0xbe750f2a, v77
	v_add_f32_e32 v22, v23, v22
	v_mov_b32_e32 v23, v77
	v_mul_f32_e32 v60, 0xbf6f5d39, v81
	v_fmac_f32_e32 v23, 0xbf788fa5, v41
	v_mul_f32_e32 v81, 0x3f29c268, v81
	v_add_f32_e32 v22, v23, v22
	v_mov_b32_e32 v23, v81
	v_fmac_f32_e32 v23, 0xbf3f9e67, v71
	v_mul_f32_e32 v124, 0x3f7e222b, v79
	v_add_f32_e32 v22, v23, v22
	v_mov_b32_e32 v23, v124
	;; [unrolled: 4-line block ×3, first 2 shown]
	v_fmac_f32_e32 v23, 0x3f62ad3f, v17
	v_mul_f32_e32 v72, 0xbf52af12, v72
	v_add_f32_e32 v23, v23, v22
	v_fma_f32 v22, v68, s7, -v72
	v_mul_f32_e32 v74, 0xbf6f5d39, v74
	v_add_f32_e32 v22, v0, v22
	v_fma_f32 v126, v57, s9, -v74
	;; [unrolled: 3-line block ×5, first 2 shown]
	v_add_f32_e32 v22, v126, v22
	v_mul_f32_e32 v126, 0x3eedf032, v9
	v_fma_f32 v9, v16, s6, -v126
	v_mul_f32_e32 v129, 0xbe750f2a, v8
	v_fma_f32 v8, v69, s15, -v30
	v_add_f32_e32 v22, v9, v22
	v_add_f32_e32 v8, v1, v8
	v_fma_f32 v9, v58, s6, -v31
	v_add_f32_e32 v8, v9, v8
	v_fma_f32 v9, v41, s14, -v34
	;; [unrolled: 2-line block ×4, first 2 shown]
	v_fma_f32 v30, v69, s14, -v88
	v_fma_f32 v34, v69, s9, -v100
	v_fma_f32 v38, v69, s8, -v112
	v_fma_f32 v69, v69, s7, -v73
	v_add_f32_e32 v8, v9, v8
	v_fma_f32 v9, v17, s8, -v39
	v_add_f32_e32 v30, v1, v30
	v_fma_f32 v31, v58, s8, -v89
	;; [unrolled: 2-line block ×21, first 2 shown]
	v_fmac_f32_e32 v72, 0x3f116cb1, v68
	v_add_f32_e32 v17, v17, v25
	v_add_f32_e32 v25, v0, v72
	v_fmac_f32_e32 v74, 0xbeb58ec6, v57
	v_add_f32_e32 v25, v74, v25
	v_fmac_f32_e32 v75, 0xbf788fa5, v40
	;; [unrolled: 2-line block ×4, first 2 shown]
	v_mul_f32_e32 v127, 0xbf3f9e67, v24
	v_fmac_f32_e32 v86, 0xbeb58ec6, v24
	v_fmac_f32_e32 v98, 0x3f62ad3f, v24
	;; [unrolled: 1-line block ×4, first 2 shown]
	v_add_f32_e32 v24, v80, v25
	v_fmac_f32_e32 v126, 0x3f62ad3f, v16
	v_mul_f32_e32 v128, 0xbf788fa5, v16
	v_fmac_f32_e32 v87, 0x3df6dbef, v16
	v_fmac_f32_e32 v99, 0xbeb58ec6, v16
	;; [unrolled: 1-line block ×4, first 2 shown]
	v_add_f32_e32 v16, v126, v24
	v_sub_f32_e32 v24, v45, v43
	v_add_f32_e32 v1, v1, v24
	v_sub_f32_e32 v24, v37, v47
	;; [unrolled: 2-line block ×3, first 2 shown]
	v_mul_f32_e32 v79, 0xbf29c268, v79
	v_add_f32_e32 v1, v24, v1
	v_sub_f32_e32 v21, v21, v60
	v_add_f32_e32 v1, v21, v1
	v_sub_f32_e32 v13, v13, v79
	v_mul_f32_e32 v42, 0x3f62ad3f, v68
	v_add_f32_e32 v1, v13, v1
	v_sub_f32_e32 v5, v5, v129
	v_mul_f32_e32 v46, 0x3f116cb1, v57
	v_fmac_f32_e32 v82, 0xbf788fa5, v68
	v_fmac_f32_e32 v94, 0xbf3f9e67, v68
	;; [unrolled: 1-line block ×4, first 2 shown]
	v_add_f32_e32 v1, v5, v1
	v_add_f32_e32 v5, v42, v44
	v_mul_f32_e32 v55, 0x3df6dbef, v40
	v_add_f32_e32 v9, v9, v8
	v_add_f32_e32 v8, v0, v82
	;; [unrolled: 1-line block ×10, first 2 shown]
	v_mul_f32_e32 v59, 0xbeb58ec6, v70
	v_add_f32_e32 v0, v5, v0
	v_add_f32_e32 v5, v55, v32
	v_fmac_f32_e32 v83, 0x3f62ad3f, v57
	v_fmac_f32_e32 v95, 0x3df6dbef, v57
	;; [unrolled: 1-line block ×4, first 2 shown]
	v_add_f32_e32 v0, v5, v0
	v_add_f32_e32 v5, v59, v20
	;; [unrolled: 1-line block ×3, first 2 shown]
	v_fmac_f32_e32 v84, 0xbf3f9e67, v40
	v_add_f32_e32 v30, v95, v30
	v_fmac_f32_e32 v96, 0x3f116cb1, v40
	v_add_f32_e32 v34, v107, v34
	;; [unrolled: 2-line block ×4, first 2 shown]
	v_add_f32_e32 v5, v127, v12
	v_add_f32_e32 v8, v84, v8
	v_fmac_f32_e32 v85, 0x3f116cb1, v70
	v_add_f32_e32 v30, v96, v30
	v_fmac_f32_e32 v97, 0xbf788fa5, v70
	;; [unrolled: 2-line block ×4, first 2 shown]
	v_add_f32_e32 v0, v5, v0
	v_add_f32_e32 v4, v128, v4
	;; [unrolled: 1-line block ×7, first 2 shown]
	v_mul_i32_i24_e32 v4, 0x68, v54
	v_add_f32_e32 v8, v86, v8
	v_add_f32_e32 v30, v98, v30
	;; [unrolled: 1-line block ×4, first 2 shown]
	v_add3_u32 v4, 0, v4, v51
	v_add_f32_e32 v8, v87, v8
	v_add_f32_e32 v30, v99, v30
	;; [unrolled: 1-line block ×4, first 2 shown]
	ds_write2_b64 v4, v[26:27], v[28:29] offset1:1
	ds_write2_b64 v4, v[22:23], v[18:19] offset0:2 offset1:3
	ds_write2_b64 v4, v[14:15], v[10:11] offset0:4 offset1:5
	;; [unrolled: 1-line block ×5, first 2 shown]
	ds_write_b64 v4, v[0:1] offset:96
.LBB0_14:
	s_or_b64 exec, exec, s[4:5]
	v_lshlrev_b32_e32 v0, 3, v54
	s_waitcnt lgkmcnt(0)
	s_barrier
	ds_read2_b64 v[10:13], v64 offset0:182 offset1:221
	ds_read2_b64 v[14:17], v67 offset0:108 offset1:147
	v_add3_u32 v32, 0, v0, v51
	ds_read_b64 v[30:31], v62
	ds_read_b64 v[0:1], v32
	ds_read2_b64 v[6:9], v64 offset0:78 offset1:117
	ds_read2_b64 v[18:21], v67 offset0:4 offset1:43
	;; [unrolled: 1-line block ×3, first 2 shown]
	v_cmp_gt_u32_e64 s[0:1], 26, v50
	s_and_saveexec_b64 s[4:5], s[0:1]
	s_cbranch_execz .LBB0_16
; %bb.15:
	v_add_u32_e32 v2, 0x400, v64
	ds_read2_b64 v[2:5], v2 offset0:28 offset1:210
	ds_read_b64 v[28:29], v64 offset:4160
	s_waitcnt lgkmcnt(1)
	v_mov_b32_e32 v27, v5
	v_mov_b32_e32 v26, v4
.LBB0_16:
	s_or_b64 exec, exec, s[4:5]
	s_movk_i32 s6, 0x4f
	v_mul_lo_u16_sdwa v4, v50, s6 dst_sel:DWORD dst_unused:UNUSED_PAD src0_sel:BYTE_0 src1_sel:DWORD
	v_lshrrev_b16_e32 v5, 10, v4
	v_mul_lo_u16_sdwa v33, v54, s6 dst_sel:DWORD dst_unused:UNUSED_PAD src0_sel:BYTE_0 src1_sel:DWORD
	v_mul_lo_u16_e32 v4, 13, v5
	v_lshrrev_b16_e32 v46, 10, v33
	v_sub_u16_e32 v45, v50, v4
	v_mov_b32_e32 v4, 4
	v_mul_lo_u16_e32 v33, 13, v46
	v_lshlrev_b32_sdwa v41, v4, v45 dst_sel:DWORD dst_unused:UNUSED_PAD src0_sel:DWORD src1_sel:BYTE_0
	v_sub_u16_e32 v47, v54, v33
	v_lshlrev_b32_sdwa v42, v4, v47 dst_sel:DWORD dst_unused:UNUSED_PAD src0_sel:DWORD src1_sel:BYTE_0
	global_load_dwordx4 v[33:36], v41, s[12:13]
	global_load_dwordx4 v[37:40], v42, s[12:13]
	v_add_u16_e32 v41, 0x4e, v50
	v_mul_lo_u16_sdwa v42, v41, s6 dst_sel:DWORD dst_unused:UNUSED_PAD src0_sel:BYTE_0 src1_sel:DWORD
	v_lshrrev_b16_e32 v59, 10, v42
	v_mul_lo_u16_e32 v42, 13, v59
	v_add_u16_e32 v55, 0x75, v50
	v_sub_u16_e32 v60, v41, v42
	v_mul_lo_u16_sdwa v42, v55, s6 dst_sel:DWORD dst_unused:UNUSED_PAD src0_sel:BYTE_0 src1_sel:DWORD
	v_lshrrev_b16_e32 v67, 10, v42
	v_lshlrev_b32_sdwa v41, v4, v60 dst_sel:DWORD dst_unused:UNUSED_PAD src0_sel:DWORD src1_sel:BYTE_0
	v_mul_lo_u16_e32 v56, 13, v67
	global_load_dwordx4 v[41:44], v41, s[12:13]
	v_sub_u16_e32 v68, v55, v56
	v_lshlrev_b32_sdwa v55, v4, v68 dst_sel:DWORD dst_unused:UNUSED_PAD src0_sel:DWORD src1_sel:BYTE_0
	global_load_dwordx4 v[55:58], v55, s[12:13]
	s_movk_i32 s7, 0x138
	s_waitcnt vmcnt(0) lgkmcnt(0)
	s_barrier
	v_mul_f32_e32 v69, v34, v11
	v_mul_f32_e32 v34, v34, v10
	;; [unrolled: 1-line block ×6, first 2 shown]
	v_fmac_f32_e32 v34, v33, v11
	v_fmac_f32_e32 v36, v35, v15
	v_mul_f32_e32 v71, v38, v13
	v_mul_f32_e32 v38, v38, v12
	v_fma_f32 v10, v33, v10, -v69
	v_fma_f32 v11, v35, v14, -v70
	v_fmac_f32_e32 v40, v39, v17
	v_add_f32_e32 v17, v34, v36
	v_mul_f32_e32 v73, v42, v19
	v_mul_f32_e32 v42, v42, v18
	;; [unrolled: 1-line block ×3, first 2 shown]
	v_fmac_f32_e32 v38, v37, v13
	v_fma_f32 v13, v39, v16, -v72
	v_add_f32_e32 v15, v10, v11
	v_add_f32_e32 v16, v31, v34
	v_fmac_f32_e32 v31, -0.5, v17
	v_mul_f32_e32 v44, v44, v22
	v_fma_f32 v33, v41, v18, -v73
	v_fmac_f32_e32 v42, v41, v19
	v_fma_f32 v22, v43, v22, -v74
	v_add_f32_e32 v14, v30, v10
	v_sub_f32_e32 v19, v10, v11
	v_fma_f32 v30, -0.5, v15, v30
	v_mov_b32_e32 v15, v31
	v_mul_f32_e32 v75, v56, v21
	v_mul_f32_e32 v56, v56, v20
	v_fma_f32 v12, v37, v12, -v71
	v_sub_f32_e32 v18, v34, v36
	v_add_f32_e32 v10, v14, v11
	v_mov_b32_e32 v14, v30
	v_fmac_f32_e32 v31, 0x3f5db3d7, v19
	v_fmac_f32_e32 v15, 0xbf5db3d7, v19
	v_add_f32_e32 v19, v33, v22
	v_fmac_f32_e32 v44, v43, v23
	v_fma_f32 v35, v55, v20, -v75
	v_fmac_f32_e32 v56, v55, v21
	v_add_f32_e32 v20, v0, v12
	v_add_f32_e32 v21, v12, v13
	v_fmac_f32_e32 v30, 0xbf5db3d7, v18
	v_fmac_f32_e32 v14, 0x3f5db3d7, v18
	v_add_f32_e32 v18, v6, v33
	v_fma_f32 v6, -0.5, v19, v6
	v_mul_f32_e32 v76, v25, v58
	v_sub_f32_e32 v34, v12, v13
	v_add_f32_e32 v12, v20, v13
	v_fma_f32 v0, -0.5, v21, v0
	v_sub_f32_e32 v19, v42, v44
	v_mov_b32_e32 v20, v6
	v_add_f32_e32 v21, v42, v44
	v_fma_f32 v37, v24, v57, -v76
	v_sub_f32_e32 v23, v38, v40
	v_add_f32_e32 v11, v16, v36
	v_mov_b32_e32 v16, v0
	v_fmac_f32_e32 v20, 0x3f5db3d7, v19
	v_fmac_f32_e32 v6, 0xbf5db3d7, v19
	v_add_f32_e32 v19, v7, v42
	v_fma_f32 v7, -0.5, v21, v7
	v_mul_f32_e32 v58, v24, v58
	v_fmac_f32_e32 v0, 0xbf5db3d7, v23
	v_fmac_f32_e32 v16, 0x3f5db3d7, v23
	v_add_f32_e32 v18, v18, v22
	v_sub_f32_e32 v22, v33, v22
	v_mov_b32_e32 v21, v7
	v_add_f32_e32 v23, v35, v37
	v_fmac_f32_e32 v58, v25, v57
	v_add_f32_e32 v24, v1, v38
	v_add_f32_e32 v25, v38, v40
	v_fmac_f32_e32 v21, 0xbf5db3d7, v22
	v_fmac_f32_e32 v7, 0x3f5db3d7, v22
	v_add_f32_e32 v22, v8, v35
	v_fma_f32 v8, -0.5, v23, v8
	v_add_f32_e32 v13, v24, v40
	v_fmac_f32_e32 v1, -0.5, v25
	v_sub_f32_e32 v23, v56, v58
	v_mov_b32_e32 v24, v8
	v_add_f32_e32 v25, v56, v58
	v_fmac_f32_e32 v24, 0x3f5db3d7, v23
	v_fmac_f32_e32 v8, 0xbf5db3d7, v23
	v_add_f32_e32 v23, v9, v56
	v_fmac_f32_e32 v9, -0.5, v25
	v_sub_f32_e32 v33, v35, v37
	v_mov_b32_e32 v25, v9
	v_mov_b32_e32 v17, v1
	v_fmac_f32_e32 v25, 0xbf5db3d7, v33
	v_fmac_f32_e32 v9, 0x3f5db3d7, v33
	v_mad_u32_u24 v33, v5, s7, 0
	v_mov_b32_e32 v5, 3
	v_fmac_f32_e32 v1, 0x3f5db3d7, v34
	v_fmac_f32_e32 v17, 0xbf5db3d7, v34
	v_lshlrev_b32_sdwa v34, v5, v45 dst_sel:DWORD dst_unused:UNUSED_PAD src0_sel:DWORD src1_sel:BYTE_0
	v_add3_u32 v33, v33, v34, v51
	ds_write2_b64 v33, v[10:11], v[14:15] offset1:13
	ds_write_b64 v33, v[30:31] offset:208
	v_mad_u32_u24 v10, v46, s7, 0
	v_lshlrev_b32_sdwa v11, v5, v47 dst_sel:DWORD dst_unused:UNUSED_PAD src0_sel:DWORD src1_sel:BYTE_0
	v_add3_u32 v10, v10, v11, v51
	ds_write2_b64 v10, v[12:13], v[16:17] offset1:13
	ds_write_b64 v10, v[0:1] offset:208
	v_mad_u32_u24 v0, v59, s7, 0
	v_lshlrev_b32_sdwa v1, v5, v60 dst_sel:DWORD dst_unused:UNUSED_PAD src0_sel:DWORD src1_sel:BYTE_0
	v_add_f32_e32 v19, v19, v44
	v_add3_u32 v0, v0, v1, v51
	ds_write2_b64 v0, v[18:19], v[20:21] offset1:13
	ds_write_b64 v0, v[6:7] offset:208
	v_mad_u32_u24 v0, v67, s7, 0
	v_lshlrev_b32_sdwa v1, v5, v68 dst_sel:DWORD dst_unused:UNUSED_PAD src0_sel:DWORD src1_sel:BYTE_0
	v_add_f32_e32 v22, v22, v37
	v_add_f32_e32 v23, v23, v58
	v_add3_u32 v0, v0, v1, v51
	ds_write2_b64 v0, v[22:23], v[24:25] offset1:13
	ds_write_b64 v0, v[8:9] offset:208
	s_and_saveexec_b64 s[4:5], s[0:1]
	s_cbranch_execz .LBB0_18
; %bb.17:
	v_add_u16_e32 v0, 0x9c, v50
	v_mul_lo_u16_sdwa v1, v0, s6 dst_sel:DWORD dst_unused:UNUSED_PAD src0_sel:BYTE_0 src1_sel:DWORD
	v_lshrrev_b16_e32 v1, 10, v1
	v_mul_lo_u16_e32 v6, 13, v1
	v_sub_u16_e32 v0, v0, v6
	v_lshlrev_b32_sdwa v4, v4, v0 dst_sel:DWORD dst_unused:UNUSED_PAD src0_sel:DWORD src1_sel:BYTE_0
	global_load_dwordx4 v[6:9], v4, s[12:13]
	v_mad_u32_u24 v1, v1, s7, 0
	v_lshlrev_b32_sdwa v0, v5, v0 dst_sel:DWORD dst_unused:UNUSED_PAD src0_sel:DWORD src1_sel:BYTE_0
	v_add3_u32 v10, v1, v0, v51
	s_waitcnt vmcnt(0)
	v_mul_f32_e32 v0, v27, v7
	v_mul_f32_e32 v1, v29, v9
	;; [unrolled: 1-line block ×4, first 2 shown]
	v_fma_f32 v0, v26, v6, -v0
	v_fma_f32 v7, v28, v8, -v1
	v_fmac_f32_e32 v4, v27, v6
	v_fmac_f32_e32 v5, v29, v8
	v_add_f32_e32 v1, v4, v5
	v_add_f32_e32 v8, v0, v7
	v_sub_f32_e32 v6, v0, v7
	v_sub_f32_e32 v9, v4, v5
	v_add_f32_e32 v4, v3, v4
	v_add_f32_e32 v11, v2, v0
	v_fma_f32 v1, -0.5, v1, v3
	v_fma_f32 v0, -0.5, v8, v2
	v_add_f32_e32 v3, v4, v5
	v_add_f32_e32 v2, v11, v7
	v_mov_b32_e32 v5, v1
	v_mov_b32_e32 v4, v0
	v_fmac_f32_e32 v1, 0xbf5db3d7, v6
	v_fmac_f32_e32 v0, 0x3f5db3d7, v9
	;; [unrolled: 1-line block ×4, first 2 shown]
	ds_write2_b64 v10, v[2:3], v[0:1] offset1:13
	ds_write_b64 v10, v[4:5] offset:208
.LBB0_18:
	s_or_b64 exec, exec, s[4:5]
	v_mul_u32_u24_e32 v0, 6, v50
	v_lshlrev_b32_e32 v12, 3, v0
	s_waitcnt lgkmcnt(0)
	s_barrier
	global_load_dwordx4 v[0:3], v12, s[12:13] offset:208
	global_load_dwordx4 v[4:7], v12, s[12:13] offset:224
	;; [unrolled: 1-line block ×3, first 2 shown]
	ds_read2_b64 v[12:15], v64 offset0:78 offset1:117
	ds_read2_b64 v[16:19], v64 offset0:156 offset1:195
	v_add_u32_e32 v43, 0x400, v64
	v_add_u32_e32 v47, 0x800, v64
	ds_read_b64 v[37:38], v62
	ds_read_b64 v[39:40], v32
	ds_read2_b64 v[20:23], v43 offset0:106 offset1:145
	ds_read2_b64 v[24:27], v47 offset0:56 offset1:95
	;; [unrolled: 1-line block ×4, first 2 shown]
	s_mov_b32 s0, 0x3f5ff5aa
	s_mov_b32 s1, 0x3f3bfb3b
	s_mov_b32 s4, 0xbf3bfb3b
	s_mov_b32 s5, 0xbeae86e6
	s_waitcnt vmcnt(0) lgkmcnt(0)
	s_barrier
	s_add_u32 s6, s12, 0x10a8
	s_addc_u32 s7, s13, 0
	v_mul_f32_e32 v41, v1, v13
	v_mul_f32_e32 v42, v1, v12
	;; [unrolled: 1-line block ×24, first 2 shown]
	v_fma_f32 v11, v0, v12, -v41
	v_fmac_f32_e32 v42, v0, v13
	v_fma_f32 v12, v2, v16, -v44
	v_fmac_f32_e32 v45, v2, v17
	v_fma_f32 v13, v4, v20, -v46
	v_fma_f32 v17, v28, v8, -v57
	;; [unrolled: 1-line block ×3, first 2 shown]
	v_fmac_f32_e32 v51, v4, v21
	v_fma_f32 v16, v6, v24, -v55
	v_fmac_f32_e32 v58, v29, v8
	v_fmac_f32_e32 v60, v34, v10
	v_fma_f32 v14, v14, v0, -v67
	v_fmac_f32_e32 v68, v15, v0
	v_fma_f32 v15, v18, v2, -v1
	v_fma_f32 v18, v22, v4, -v3
	v_fmac_f32_e32 v70, v23, v4
	v_add_f32_e32 v0, v11, v20
	v_add_f32_e32 v4, v12, v17
	v_fmac_f32_e32 v56, v6, v25
	v_fmac_f32_e32 v69, v19, v2
	v_fma_f32 v19, v26, v6, -v5
	v_fmac_f32_e32 v71, v27, v6
	v_fma_f32 v21, v30, v8, -v7
	;; [unrolled: 2-line block ×3, first 2 shown]
	v_fmac_f32_e32 v73, v36, v10
	v_add_f32_e32 v1, v42, v60
	v_add_f32_e32 v5, v45, v58
	v_sub_f32_e32 v6, v12, v17
	v_add_f32_e32 v8, v13, v16
	v_sub_f32_e32 v10, v16, v13
	;; [unrolled: 2-line block ×3, first 2 shown]
	v_sub_f32_e32 v7, v45, v58
	v_add_f32_e32 v9, v51, v56
	v_sub_f32_e32 v11, v56, v51
	v_add_f32_e32 v13, v5, v1
	v_sub_f32_e32 v16, v4, v0
	v_sub_f32_e32 v20, v0, v8
	;; [unrolled: 1-line block ×3, first 2 shown]
	v_add_f32_e32 v0, v10, v6
	v_add_f32_e32 v8, v8, v12
	v_sub_f32_e32 v3, v42, v60
	v_sub_f32_e32 v17, v5, v1
	v_sub_f32_e32 v23, v1, v9
	v_sub_f32_e32 v5, v9, v5
	v_add_f32_e32 v1, v11, v7
	v_sub_f32_e32 v24, v10, v6
	v_sub_f32_e32 v10, v2, v10
	;; [unrolled: 1-line block ×3, first 2 shown]
	v_add_f32_e32 v9, v9, v13
	v_add_f32_e32 v2, v0, v2
	;; [unrolled: 1-line block ×3, first 2 shown]
	v_sub_f32_e32 v25, v11, v7
	v_sub_f32_e32 v11, v3, v11
	;; [unrolled: 1-line block ×3, first 2 shown]
	v_add_f32_e32 v3, v1, v3
	v_add_f32_e32 v1, v9, v38
	v_mov_b32_e32 v28, v0
	v_mul_f32_e32 v12, 0x3f4a47b2, v20
	v_mul_f32_e32 v13, 0x3f4a47b2, v23
	;; [unrolled: 1-line block ×7, first 2 shown]
	v_fmac_f32_e32 v28, 0xbf955555, v8
	v_mov_b32_e32 v8, v1
	v_mul_f32_e32 v25, 0xbf08b237, v25
	v_fmac_f32_e32 v8, 0xbf955555, v9
	v_fma_f32 v9, v16, s1, -v20
	v_fma_f32 v20, v17, s1, -v23
	;; [unrolled: 1-line block ×3, first 2 shown]
	v_fmac_f32_e32 v12, 0x3d64c772, v4
	v_fma_f32 v4, v17, s4, -v13
	v_fma_f32 v17, v6, s0, -v24
	v_fmac_f32_e32 v24, 0x3eae86e6, v10
	v_fma_f32 v26, v10, s5, -v26
	v_fma_f32 v10, v11, s5, -v27
	v_fmac_f32_e32 v13, 0x3d64c772, v5
	v_fma_f32 v23, v7, s0, -v25
	v_add_f32_e32 v16, v16, v28
	v_fmac_f32_e32 v10, 0x3ee1c552, v3
	v_fmac_f32_e32 v25, 0x3eae86e6, v11
	v_add_f32_e32 v13, v13, v8
	v_add_f32_e32 v9, v9, v28
	;; [unrolled: 1-line block ×4, first 2 shown]
	v_fmac_f32_e32 v24, 0x3ee1c552, v2
	v_fmac_f32_e32 v17, 0x3ee1c552, v2
	;; [unrolled: 1-line block ×4, first 2 shown]
	v_add_f32_e32 v4, v10, v16
	v_sub_f32_e32 v10, v16, v10
	v_add_f32_e32 v16, v14, v22
	v_sub_f32_e32 v14, v14, v22
	v_add_f32_e32 v22, v15, v21
	v_add_f32_e32 v12, v12, v28
	v_fmac_f32_e32 v25, 0x3ee1c552, v3
	v_sub_f32_e32 v3, v13, v24
	v_sub_f32_e32 v5, v20, v26
	;; [unrolled: 1-line block ×3, first 2 shown]
	v_add_f32_e32 v7, v17, v11
	v_add_f32_e32 v8, v23, v9
	v_sub_f32_e32 v9, v11, v17
	v_add_f32_e32 v11, v26, v20
	v_add_f32_e32 v13, v24, v13
	;; [unrolled: 1-line block ×4, first 2 shown]
	v_sub_f32_e32 v15, v15, v21
	v_add_f32_e32 v24, v18, v19
	v_sub_f32_e32 v18, v19, v18
	v_add_f32_e32 v26, v22, v16
	v_add_f32_e32 v2, v25, v12
	v_sub_f32_e32 v12, v12, v25
	v_add_f32_e32 v25, v70, v71
	v_add_f32_e32 v27, v23, v17
	v_sub_f32_e32 v28, v22, v16
	v_sub_f32_e32 v16, v16, v24
	;; [unrolled: 1-line block ×3, first 2 shown]
	v_add_f32_e32 v30, v18, v15
	v_add_f32_e32 v24, v24, v26
	v_sub_f32_e32 v20, v68, v73
	v_sub_f32_e32 v21, v69, v72
	;; [unrolled: 1-line block ×9, first 2 shown]
	v_add_f32_e32 v25, v25, v27
	v_add_f32_e32 v26, v30, v14
	;; [unrolled: 1-line block ×4, first 2 shown]
	v_sub_f32_e32 v34, v19, v21
	v_sub_f32_e32 v21, v21, v20
	v_add_f32_e32 v15, v25, v40
	v_mov_b32_e32 v37, v14
	v_sub_f32_e32 v19, v20, v19
	v_add_f32_e32 v20, v31, v20
	v_mul_f32_e32 v16, 0x3f4a47b2, v16
	v_mul_f32_e32 v17, 0x3f4a47b2, v17
	;; [unrolled: 1-line block ×8, first 2 shown]
	v_fmac_f32_e32 v37, 0xbf955555, v24
	v_mov_b32_e32 v24, v15
	v_fmac_f32_e32 v24, 0xbf955555, v25
	v_fma_f32 v25, v28, s1, -v27
	v_fma_f32 v27, v29, s1, -v30
	;; [unrolled: 1-line block ×3, first 2 shown]
	v_fmac_f32_e32 v16, 0x3d64c772, v22
	v_fma_f32 v22, v29, s4, -v17
	v_fmac_f32_e32 v17, 0x3d64c772, v23
	v_fma_f32 v23, v35, s0, -v31
	;; [unrolled: 2-line block ×4, first 2 shown]
	v_fma_f32 v34, v19, s5, -v36
	v_add_f32_e32 v35, v16, v37
	v_add_f32_e32 v36, v17, v24
	;; [unrolled: 1-line block ×6, first 2 shown]
	v_fmac_f32_e32 v31, 0x3ee1c552, v26
	v_fmac_f32_e32 v33, 0x3ee1c552, v20
	;; [unrolled: 1-line block ×6, first 2 shown]
	v_mov_b32_e32 v51, 0
	v_add_f32_e32 v16, v33, v35
	v_sub_f32_e32 v17, v36, v31
	v_add_f32_e32 v18, v34, v28
	v_sub_f32_e32 v19, v37, v30
	v_sub_f32_e32 v20, v25, v29
	v_add_f32_e32 v21, v23, v27
	v_add_f32_e32 v22, v29, v25
	v_sub_f32_e32 v23, v27, v23
	v_sub_f32_e32 v24, v28, v34
	v_add_f32_e32 v25, v30, v37
	v_sub_f32_e32 v26, v35, v33
	v_add_f32_e32 v27, v31, v36
	ds_write2_b64 v64, v[0:1], v[2:3] offset1:39
	ds_write2_b64 v64, v[4:5], v[6:7] offset0:78 offset1:117
	ds_write2_b64 v64, v[8:9], v[10:11] offset0:156 offset1:195
	;; [unrolled: 1-line block ×6, first 2 shown]
	v_lshlrev_b64 v[0:1], 3, v[50:51]
	v_mov_b32_e32 v7, s13
	v_add_co_u32_e64 v4, s[0:1], s12, v0
	v_addc_co_u32_e64 v5, s[0:1], v7, v1, s[0:1]
	s_waitcnt lgkmcnt(0)
	s_barrier
	global_load_dwordx2 v[28:29], v[4:5], off offset:2080
	v_mov_b32_e32 v55, v51
	v_lshlrev_b64 v[2:3], 3, v[54:55]
	v_lshl_add_u32 v51, v65, 3, v66
	v_add_co_u32_e64 v6, s[0:1], s12, v2
	v_addc_co_u32_e64 v7, s[0:1], v7, v3, s[0:1]
	global_load_dwordx2 v[30:31], v[6:7], off offset:2080
	global_load_dwordx2 v[33:34], v[4:5], off offset:2704
	;; [unrolled: 1-line block ×6, first 2 shown]
	ds_read2_b64 v[4:7], v43 offset0:106 offset1:145
	ds_read_b64 v[43:44], v62
	ds_read_b64 v[45:46], v32
	ds_read2_b64 v[8:11], v47 offset0:56 offset1:95
	ds_read2_b64 v[12:15], v64 offset0:78 offset1:117
	;; [unrolled: 1-line block ×5, first 2 shown]
	s_waitcnt vmcnt(0) lgkmcnt(0)
	s_barrier
	v_cmp_ne_u32_e64 s[0:1], 0, v50
	v_mul_f32_e32 v47, v29, v7
	v_fma_f32 v47, v28, v6, -v47
	v_mul_f32_e32 v29, v29, v6
	v_mul_f32_e32 v6, v31, v9
	v_fmac_f32_e32 v29, v28, v7
	v_fma_f32 v28, v30, v8, -v6
	v_mul_f32_e32 v31, v31, v8
	v_mul_f32_e32 v6, v34, v11
	v_fmac_f32_e32 v31, v30, v9
	;; [unrolled: 4-line block ×5, first 2 shown]
	v_fma_f32 v37, v24, v39, -v6
	v_mul_f32_e32 v40, v24, v40
	v_mul_f32_e32 v6, v27, v42
	;; [unrolled: 1-line block ×3, first 2 shown]
	v_fmac_f32_e32 v40, v25, v39
	v_fma_f32 v39, v26, v41, -v6
	v_fmac_f32_e32 v42, v27, v41
	v_sub_f32_e32 v6, v43, v47
	v_sub_f32_e32 v7, v44, v29
	v_fma_f32 v8, v43, 2.0, -v6
	v_fma_f32 v9, v44, 2.0, -v7
	v_sub_f32_e32 v10, v45, v28
	v_sub_f32_e32 v11, v46, v31
	;; [unrolled: 1-line block ×8, first 2 shown]
	v_fma_f32 v16, v45, 2.0, -v10
	v_fma_f32 v17, v46, 2.0, -v11
	;; [unrolled: 1-line block ×6, first 2 shown]
	v_sub_f32_e32 v26, v20, v35
	v_sub_f32_e32 v27, v21, v38
	;; [unrolled: 1-line block ×4, first 2 shown]
	v_fma_f32 v4, v4, 2.0, -v30
	v_fma_f32 v5, v5, 2.0, -v31
	ds_write_b64 v64, v[8:9]
	ds_write_b64 v64, v[6:7] offset:2184
	ds_write_b64 v32, v[16:17]
	ds_write_b64 v32, v[10:11] offset:2184
	ds_write2_b64 v64, v[12:13], v[14:15] offset0:78 offset1:117
	v_add_u32_e32 v6, 0x800, v51
	v_fma_f32 v20, v20, 2.0, -v26
	v_fma_f32 v21, v21, 2.0, -v27
	;; [unrolled: 1-line block ×4, first 2 shown]
	ds_write2_b64 v6, v[18:19], v[24:25] offset0:95 offset1:134
	ds_write2_b64 v64, v[20:21], v[22:23] offset0:156 offset1:195
	;; [unrolled: 1-line block ×3, first 2 shown]
	ds_write_b64 v64, v[4:5] offset:1872
	ds_write_b64 v51, v[30:31] offset:4056
	s_waitcnt lgkmcnt(0)
	s_barrier
	ds_read_b64 v[4:5], v62
	v_sub_u32_e32 v6, v61, v63
                                        ; implicit-def: $vgpr8
                                        ; implicit-def: $vgpr7
	s_and_saveexec_b64 s[4:5], s[0:1]
	s_xor_b64 s[4:5], exec, s[4:5]
	s_cbranch_execz .LBB0_20
; %bb.19:
	v_mov_b32_e32 v8, s7
	v_add_co_u32_e64 v7, s[0:1], s6, v0
	v_addc_co_u32_e64 v8, s[0:1], v8, v1, s[0:1]
	global_load_dwordx2 v[8:9], v[7:8], off
	ds_read_b64 v[10:11], v6 offset:4368
	s_waitcnt lgkmcnt(0)
	v_add_f32_e32 v12, v10, v4
	v_add_f32_e32 v7, v11, v5
	v_sub_f32_e32 v4, v4, v10
	v_sub_f32_e32 v5, v5, v11
	v_mul_f32_e32 v10, 0.5, v7
	v_mul_f32_e32 v4, 0.5, v4
	;; [unrolled: 1-line block ×3, first 2 shown]
	s_waitcnt vmcnt(0)
	v_mul_f32_e32 v11, v9, v4
	v_fma_f32 v13, v10, v9, v5
	v_fma_f32 v5, v10, v9, -v5
	v_fma_f32 v7, 0.5, v12, v11
	v_fma_f32 v9, -v8, v4, v13
	v_fma_f32 v11, v12, 0.5, -v11
	v_fma_f32 v4, -v8, v4, v5
	v_fmac_f32_e32 v7, v8, v10
	ds_write_b32 v62, v9 offset:4
	v_fma_f32 v8, -v8, v10, v11
	ds_write_b32 v6, v4 offset:4372
                                        ; implicit-def: $vgpr4_vgpr5
.LBB0_20:
	s_andn2_saveexec_b64 s[0:1], s[4:5]
	s_cbranch_execz .LBB0_22
; %bb.21:
	v_mov_b32_e32 v7, 0
	ds_write_b32 v62, v7 offset:4
	ds_write_b32 v6, v7 offset:4372
	ds_read_b32 v9, v61 offset:2188
	s_waitcnt lgkmcnt(3)
	v_add_f32_e32 v7, v4, v5
	v_sub_f32_e32 v8, v4, v5
	s_waitcnt lgkmcnt(0)
	v_xor_b32_e32 v4, 0x80000000, v9
	ds_write_b32 v61, v4 offset:2188
.LBB0_22:
	s_or_b64 exec, exec, s[0:1]
	s_waitcnt lgkmcnt(0)
	v_mov_b32_e32 v4, s7
	v_add_co_u32_e64 v2, s[0:1], s6, v2
	v_addc_co_u32_e64 v3, s[0:1], v4, v3, s[0:1]
	global_load_dwordx2 v[2:3], v[2:3], off
	v_add_co_u32_e64 v0, s[0:1], s6, v0
	v_addc_co_u32_e64 v1, s[0:1], v4, v1, s[0:1]
	global_load_dwordx2 v[4:5], v[0:1], off offset:624
	global_load_dwordx2 v[9:10], v[0:1], off offset:936
	ds_write_b32 v62, v7
	ds_write_b32 v6, v8 offset:4368
	v_lshl_add_u32 v15, v54, 3, v61
	ds_read_b64 v[7:8], v15
	ds_read_b64 v[11:12], v6 offset:4056
	global_load_dwordx2 v[13:14], v[0:1], off offset:1248
	s_waitcnt lgkmcnt(0)
	v_add_f32_e32 v16, v7, v11
	v_sub_f32_e32 v7, v7, v11
	v_add_f32_e32 v17, v8, v12
	v_sub_f32_e32 v8, v8, v12
	v_mul_f32_e32 v7, 0.5, v7
	v_mul_f32_e32 v11, 0.5, v17
	;; [unrolled: 1-line block ×3, first 2 shown]
	s_waitcnt vmcnt(3)
	v_mul_f32_e32 v12, v3, v7
	v_fma_f32 v17, v11, v3, v8
	v_fma_f32 v3, v11, v3, -v8
	v_fma_f32 v8, 0.5, v16, v12
	v_fma_f32 v17, -v2, v7, v17
	v_fma_f32 v12, v16, 0.5, -v12
	v_fmac_f32_e32 v8, v2, v11
	v_fma_f32 v3, -v2, v7, v3
	v_fma_f32 v2, -v2, v11, v12
	ds_write2_b32 v15, v8, v17 offset1:1
	ds_write_b64 v6, v[2:3] offset:4056
	ds_read_b64 v[2:3], v62 offset:624
	ds_read_b64 v[7:8], v6 offset:3744
	global_load_dwordx2 v[11:12], v[0:1], off offset:1560
	s_waitcnt lgkmcnt(0)
	v_add_f32_e32 v15, v2, v7
	v_sub_f32_e32 v2, v2, v7
	v_add_f32_e32 v16, v3, v8
	v_sub_f32_e32 v3, v3, v8
	v_mul_f32_e32 v2, 0.5, v2
	v_mul_f32_e32 v7, 0.5, v16
	;; [unrolled: 1-line block ×3, first 2 shown]
	s_waitcnt vmcnt(3)
	v_mul_f32_e32 v8, v5, v2
	v_fma_f32 v16, v7, v5, v3
	v_fma_f32 v3, v7, v5, -v3
	v_fma_f32 v5, 0.5, v15, v8
	v_fma_f32 v16, -v4, v2, v16
	v_fma_f32 v8, v15, 0.5, -v8
	v_fmac_f32_e32 v5, v4, v7
	v_fma_f32 v3, -v4, v2, v3
	v_fma_f32 v2, -v4, v7, v8
	ds_write2_b32 v62, v5, v16 offset0:156 offset1:157
	ds_write_b64 v6, v[2:3] offset:3744
	ds_read_b64 v[2:3], v62 offset:936
	ds_read_b64 v[4:5], v6 offset:3432
	global_load_dwordx2 v[0:1], v[0:1], off offset:1872
	s_waitcnt lgkmcnt(0)
	v_add_f32_e32 v7, v2, v4
	v_sub_f32_e32 v2, v2, v4
	v_add_f32_e32 v8, v3, v5
	v_sub_f32_e32 v3, v3, v5
	v_mul_f32_e32 v2, 0.5, v2
	v_mul_f32_e32 v4, 0.5, v8
	;; [unrolled: 1-line block ×3, first 2 shown]
	s_waitcnt vmcnt(3)
	v_mul_f32_e32 v5, v10, v2
	v_fma_f32 v8, v4, v10, v3
	v_fma_f32 v3, v4, v10, -v3
	v_fma_f32 v10, 0.5, v7, v5
	v_fma_f32 v8, -v9, v2, v8
	v_fma_f32 v5, v7, 0.5, -v5
	v_fmac_f32_e32 v10, v9, v4
	v_fma_f32 v3, -v9, v2, v3
	v_fma_f32 v2, -v9, v4, v5
	ds_write2_b32 v62, v10, v8 offset0:234 offset1:235
	ds_write_b64 v6, v[2:3] offset:3432
	ds_read_b64 v[2:3], v62 offset:1248
	ds_read_b64 v[4:5], v6 offset:3120
	v_add_u32_e32 v7, 0x400, v62
	s_waitcnt lgkmcnt(0)
	v_add_f32_e32 v8, v2, v4
	v_sub_f32_e32 v2, v2, v4
	v_add_f32_e32 v9, v3, v5
	v_sub_f32_e32 v3, v3, v5
	v_mul_f32_e32 v2, 0.5, v2
	v_mul_f32_e32 v4, 0.5, v9
	;; [unrolled: 1-line block ×3, first 2 shown]
	s_waitcnt vmcnt(2)
	v_mul_f32_e32 v5, v14, v2
	v_fma_f32 v9, v4, v14, v3
	v_fma_f32 v10, 0.5, v8, v5
	v_fma_f32 v3, v4, v14, -v3
	v_fma_f32 v9, -v13, v2, v9
	v_fma_f32 v5, v8, 0.5, -v5
	v_fmac_f32_e32 v10, v13, v4
	v_fma_f32 v3, -v13, v2, v3
	v_fma_f32 v2, -v13, v4, v5
	ds_write2_b32 v7, v10, v9 offset0:56 offset1:57
	ds_write_b64 v6, v[2:3] offset:3120
	ds_read_b64 v[2:3], v62 offset:1560
	ds_read_b64 v[4:5], v6 offset:2808
	s_waitcnt lgkmcnt(0)
	v_add_f32_e32 v8, v2, v4
	v_sub_f32_e32 v2, v2, v4
	v_add_f32_e32 v9, v3, v5
	v_sub_f32_e32 v3, v3, v5
	v_mul_f32_e32 v2, 0.5, v2
	v_mul_f32_e32 v4, 0.5, v9
	;; [unrolled: 1-line block ×3, first 2 shown]
	s_waitcnt vmcnt(1)
	v_mul_f32_e32 v5, v12, v2
	v_fma_f32 v9, v4, v12, v3
	v_fma_f32 v10, 0.5, v8, v5
	v_fma_f32 v3, v4, v12, -v3
	v_fma_f32 v9, -v11, v2, v9
	v_fma_f32 v5, v8, 0.5, -v5
	v_fmac_f32_e32 v10, v11, v4
	v_fma_f32 v3, -v11, v2, v3
	v_fma_f32 v2, -v11, v4, v5
	ds_write2_b32 v7, v10, v9 offset0:134 offset1:135
	ds_write_b64 v6, v[2:3] offset:2808
	ds_read_b64 v[2:3], v62 offset:1872
	ds_read_b64 v[4:5], v6 offset:2496
	s_waitcnt lgkmcnt(0)
	v_add_f32_e32 v8, v2, v4
	v_sub_f32_e32 v2, v2, v4
	v_add_f32_e32 v9, v3, v5
	v_sub_f32_e32 v3, v3, v5
	v_mul_f32_e32 v2, 0.5, v2
	v_mul_f32_e32 v4, 0.5, v9
	;; [unrolled: 1-line block ×3, first 2 shown]
	s_waitcnt vmcnt(0)
	v_mul_f32_e32 v5, v1, v2
	v_fma_f32 v9, v4, v1, v3
	v_fma_f32 v1, v4, v1, -v3
	v_fma_f32 v3, 0.5, v8, v5
	v_fma_f32 v9, -v0, v2, v9
	v_fma_f32 v5, v8, 0.5, -v5
	v_fmac_f32_e32 v3, v0, v4
	v_fma_f32 v1, -v0, v2, v1
	v_fma_f32 v0, -v0, v4, v5
	ds_write2_b32 v7, v3, v9 offset0:212 offset1:213
	ds_write_b64 v6, v[0:1] offset:2496
	s_waitcnt lgkmcnt(0)
	s_barrier
	s_and_saveexec_b64 s[0:1], vcc
	s_cbranch_execz .LBB0_25
; %bb.23:
	v_mul_lo_u32 v0, s3, v52
	v_mul_lo_u32 v3, s2, v53
	v_mad_u64_u32 v[1:2], s[0:1], s2, v52, 0
	v_mov_b32_e32 v7, s11
	v_mov_b32_e32 v51, 0
	v_add3_u32 v2, v2, v3, v0
	v_lshlrev_b64 v[1:2], 3, v[1:2]
	v_lshl_add_u32 v0, v50, 3, v61
	v_add_co_u32_e32 v1, vcc, s10, v1
	v_addc_co_u32_e32 v9, vcc, v7, v2, vcc
	v_lshlrev_b64 v[7:8], 3, v[48:49]
	ds_read2_b64 v[3:6], v0 offset1:39
	v_add_co_u32_e32 v2, vcc, v1, v7
	v_addc_co_u32_e32 v1, vcc, v9, v8, vcc
	v_lshlrev_b64 v[7:8], 3, v[50:51]
	v_add_u32_e32 v9, 0x800, v0
	v_add_co_u32_e32 v7, vcc, v2, v7
	v_addc_co_u32_e32 v8, vcc, v1, v8, vcc
	s_waitcnt lgkmcnt(0)
	global_store_dwordx2 v[7:8], v[3:4], off
	v_add_u32_e32 v3, 39, v50
	v_mov_b32_e32 v4, v51
	v_lshlrev_b64 v[3:4], 3, v[3:4]
	v_add_u32_e32 v7, 0x4e, v50
	v_add_co_u32_e32 v3, vcc, v2, v3
	v_addc_co_u32_e32 v4, vcc, v1, v4, vcc
	global_store_dwordx2 v[3:4], v[5:6], off
	v_mov_b32_e32 v8, v51
	ds_read2_b64 v[3:6], v0 offset0:78 offset1:117
	v_lshlrev_b64 v[7:8], 3, v[7:8]
	v_add_co_u32_e32 v7, vcc, v2, v7
	v_addc_co_u32_e32 v8, vcc, v1, v8, vcc
	s_waitcnt lgkmcnt(0)
	global_store_dwordx2 v[7:8], v[3:4], off
	v_add_u32_e32 v3, 0x75, v50
	v_mov_b32_e32 v4, v51
	v_lshlrev_b64 v[3:4], 3, v[3:4]
	v_add_u32_e32 v7, 0x9c, v50
	v_add_co_u32_e32 v3, vcc, v2, v3
	v_addc_co_u32_e32 v4, vcc, v1, v4, vcc
	global_store_dwordx2 v[3:4], v[5:6], off
	v_mov_b32_e32 v8, v51
	ds_read2_b64 v[3:6], v0 offset0:156 offset1:195
	v_lshlrev_b64 v[7:8], 3, v[7:8]
	v_add_co_u32_e32 v7, vcc, v2, v7
	v_addc_co_u32_e32 v8, vcc, v1, v8, vcc
	s_waitcnt lgkmcnt(0)
	global_store_dwordx2 v[7:8], v[3:4], off
	v_add_u32_e32 v3, 0xc3, v50
	v_mov_b32_e32 v4, v51
	v_lshlrev_b64 v[3:4], 3, v[3:4]
	v_add_u32_e32 v7, 0xea, v50
	v_add_co_u32_e32 v3, vcc, v2, v3
	v_addc_co_u32_e32 v4, vcc, v1, v4, vcc
	global_store_dwordx2 v[3:4], v[5:6], off
	v_add_u32_e32 v3, 0x400, v0
	v_mov_b32_e32 v8, v51
	ds_read2_b64 v[3:6], v3 offset0:106 offset1:145
	v_lshlrev_b64 v[7:8], 3, v[7:8]
	v_add_co_u32_e32 v7, vcc, v2, v7
	v_addc_co_u32_e32 v8, vcc, v1, v8, vcc
	s_waitcnt lgkmcnt(0)
	global_store_dwordx2 v[7:8], v[3:4], off
	v_add_u32_e32 v3, 0x111, v50
	v_mov_b32_e32 v4, v51
	v_lshlrev_b64 v[3:4], 3, v[3:4]
	v_add_u32_e32 v7, 0x138, v50
	v_add_co_u32_e32 v3, vcc, v2, v3
	v_addc_co_u32_e32 v4, vcc, v1, v4, vcc
	global_store_dwordx2 v[3:4], v[5:6], off
	v_mov_b32_e32 v8, v51
	ds_read2_b64 v[3:6], v9 offset0:56 offset1:95
	v_lshlrev_b64 v[7:8], 3, v[7:8]
	v_add_co_u32_e32 v7, vcc, v2, v7
	v_addc_co_u32_e32 v8, vcc, v1, v8, vcc
	s_waitcnt lgkmcnt(0)
	global_store_dwordx2 v[7:8], v[3:4], off
	v_add_u32_e32 v3, 0x15f, v50
	v_mov_b32_e32 v4, v51
	v_lshlrev_b64 v[3:4], 3, v[3:4]
	v_add_u32_e32 v7, 0x186, v50
	v_add_co_u32_e32 v3, vcc, v2, v3
	v_addc_co_u32_e32 v4, vcc, v1, v4, vcc
	global_store_dwordx2 v[3:4], v[5:6], off
	v_mov_b32_e32 v8, v51
	ds_read2_b64 v[3:6], v9 offset0:134 offset1:173
	v_lshlrev_b64 v[7:8], 3, v[7:8]
	v_add_co_u32_e32 v7, vcc, v2, v7
	v_addc_co_u32_e32 v8, vcc, v1, v8, vcc
	s_waitcnt lgkmcnt(0)
	global_store_dwordx2 v[7:8], v[3:4], off
	v_add_u32_e32 v3, 0x1ad, v50
	v_mov_b32_e32 v4, v51
	v_lshlrev_b64 v[3:4], 3, v[3:4]
	v_add_u32_e32 v7, 0x1d4, v50
	v_add_co_u32_e32 v3, vcc, v2, v3
	v_addc_co_u32_e32 v4, vcc, v1, v4, vcc
	global_store_dwordx2 v[3:4], v[5:6], off
	v_mov_b32_e32 v8, v51
	ds_read2_b64 v[3:6], v9 offset0:212 offset1:251
	v_lshlrev_b64 v[7:8], 3, v[7:8]
	v_add_co_u32_e32 v7, vcc, v2, v7
	v_addc_co_u32_e32 v8, vcc, v1, v8, vcc
	s_waitcnt lgkmcnt(0)
	global_store_dwordx2 v[7:8], v[3:4], off
	v_add_u32_e32 v3, 0x1fb, v50
	v_mov_b32_e32 v4, v51
	v_lshlrev_b64 v[3:4], 3, v[3:4]
	v_add_co_u32_e32 v3, vcc, v2, v3
	v_addc_co_u32_e32 v4, vcc, v1, v4, vcc
	v_cmp_eq_u32_e32 vcc, 38, v50
	global_store_dwordx2 v[3:4], v[5:6], off
	s_and_b64 exec, exec, vcc
	s_cbranch_execz .LBB0_25
; %bb.24:
	ds_read_b64 v[3:4], v0 offset:4064
	v_add_co_u32_e32 v0, vcc, 0x1000, v2
	v_addc_co_u32_e32 v1, vcc, 0, v1, vcc
	s_waitcnt lgkmcnt(0)
	global_store_dwordx2 v[0:1], v[3:4], off offset:272
.LBB0_25:
	s_endpgm
	.section	.rodata,"a",@progbits
	.p2align	6, 0x0
	.amdhsa_kernel fft_rtc_fwd_len546_factors_13_3_7_2_wgs_117_tpt_39_halfLds_sp_op_CI_CI_unitstride_sbrr_R2C_dirReg
		.amdhsa_group_segment_fixed_size 0
		.amdhsa_private_segment_fixed_size 0
		.amdhsa_kernarg_size 104
		.amdhsa_user_sgpr_count 6
		.amdhsa_user_sgpr_private_segment_buffer 1
		.amdhsa_user_sgpr_dispatch_ptr 0
		.amdhsa_user_sgpr_queue_ptr 0
		.amdhsa_user_sgpr_kernarg_segment_ptr 1
		.amdhsa_user_sgpr_dispatch_id 0
		.amdhsa_user_sgpr_flat_scratch_init 0
		.amdhsa_user_sgpr_private_segment_size 0
		.amdhsa_uses_dynamic_stack 0
		.amdhsa_system_sgpr_private_segment_wavefront_offset 0
		.amdhsa_system_sgpr_workgroup_id_x 1
		.amdhsa_system_sgpr_workgroup_id_y 0
		.amdhsa_system_sgpr_workgroup_id_z 0
		.amdhsa_system_sgpr_workgroup_info 0
		.amdhsa_system_vgpr_workitem_id 0
		.amdhsa_next_free_vgpr 130
		.amdhsa_next_free_sgpr 28
		.amdhsa_reserve_vcc 1
		.amdhsa_reserve_flat_scratch 0
		.amdhsa_float_round_mode_32 0
		.amdhsa_float_round_mode_16_64 0
		.amdhsa_float_denorm_mode_32 3
		.amdhsa_float_denorm_mode_16_64 3
		.amdhsa_dx10_clamp 1
		.amdhsa_ieee_mode 1
		.amdhsa_fp16_overflow 0
		.amdhsa_exception_fp_ieee_invalid_op 0
		.amdhsa_exception_fp_denorm_src 0
		.amdhsa_exception_fp_ieee_div_zero 0
		.amdhsa_exception_fp_ieee_overflow 0
		.amdhsa_exception_fp_ieee_underflow 0
		.amdhsa_exception_fp_ieee_inexact 0
		.amdhsa_exception_int_div_zero 0
	.end_amdhsa_kernel
	.text
.Lfunc_end0:
	.size	fft_rtc_fwd_len546_factors_13_3_7_2_wgs_117_tpt_39_halfLds_sp_op_CI_CI_unitstride_sbrr_R2C_dirReg, .Lfunc_end0-fft_rtc_fwd_len546_factors_13_3_7_2_wgs_117_tpt_39_halfLds_sp_op_CI_CI_unitstride_sbrr_R2C_dirReg
                                        ; -- End function
	.section	.AMDGPU.csdata,"",@progbits
; Kernel info:
; codeLenInByte = 12368
; NumSgprs: 32
; NumVgprs: 130
; ScratchSize: 0
; MemoryBound: 0
; FloatMode: 240
; IeeeMode: 1
; LDSByteSize: 0 bytes/workgroup (compile time only)
; SGPRBlocks: 3
; VGPRBlocks: 32
; NumSGPRsForWavesPerEU: 32
; NumVGPRsForWavesPerEU: 130
; Occupancy: 1
; WaveLimiterHint : 1
; COMPUTE_PGM_RSRC2:SCRATCH_EN: 0
; COMPUTE_PGM_RSRC2:USER_SGPR: 6
; COMPUTE_PGM_RSRC2:TRAP_HANDLER: 0
; COMPUTE_PGM_RSRC2:TGID_X_EN: 1
; COMPUTE_PGM_RSRC2:TGID_Y_EN: 0
; COMPUTE_PGM_RSRC2:TGID_Z_EN: 0
; COMPUTE_PGM_RSRC2:TIDIG_COMP_CNT: 0
	.type	__hip_cuid_484b1423d4c4f7b3,@object ; @__hip_cuid_484b1423d4c4f7b3
	.section	.bss,"aw",@nobits
	.globl	__hip_cuid_484b1423d4c4f7b3
__hip_cuid_484b1423d4c4f7b3:
	.byte	0                               ; 0x0
	.size	__hip_cuid_484b1423d4c4f7b3, 1

	.ident	"AMD clang version 19.0.0git (https://github.com/RadeonOpenCompute/llvm-project roc-6.4.0 25133 c7fe45cf4b819c5991fe208aaa96edf142730f1d)"
	.section	".note.GNU-stack","",@progbits
	.addrsig
	.addrsig_sym __hip_cuid_484b1423d4c4f7b3
	.amdgpu_metadata
---
amdhsa.kernels:
  - .args:
      - .actual_access:  read_only
        .address_space:  global
        .offset:         0
        .size:           8
        .value_kind:     global_buffer
      - .offset:         8
        .size:           8
        .value_kind:     by_value
      - .actual_access:  read_only
        .address_space:  global
        .offset:         16
        .size:           8
        .value_kind:     global_buffer
      - .actual_access:  read_only
        .address_space:  global
        .offset:         24
        .size:           8
        .value_kind:     global_buffer
      - .actual_access:  read_only
        .address_space:  global
        .offset:         32
        .size:           8
        .value_kind:     global_buffer
      - .offset:         40
        .size:           8
        .value_kind:     by_value
      - .actual_access:  read_only
        .address_space:  global
        .offset:         48
        .size:           8
        .value_kind:     global_buffer
      - .actual_access:  read_only
        .address_space:  global
        .offset:         56
        .size:           8
        .value_kind:     global_buffer
      - .offset:         64
        .size:           4
        .value_kind:     by_value
      - .actual_access:  read_only
        .address_space:  global
        .offset:         72
        .size:           8
        .value_kind:     global_buffer
      - .actual_access:  read_only
        .address_space:  global
        .offset:         80
        .size:           8
        .value_kind:     global_buffer
      - .actual_access:  read_only
        .address_space:  global
        .offset:         88
        .size:           8
        .value_kind:     global_buffer
      - .actual_access:  write_only
        .address_space:  global
        .offset:         96
        .size:           8
        .value_kind:     global_buffer
    .group_segment_fixed_size: 0
    .kernarg_segment_align: 8
    .kernarg_segment_size: 104
    .language:       OpenCL C
    .language_version:
      - 2
      - 0
    .max_flat_workgroup_size: 117
    .name:           fft_rtc_fwd_len546_factors_13_3_7_2_wgs_117_tpt_39_halfLds_sp_op_CI_CI_unitstride_sbrr_R2C_dirReg
    .private_segment_fixed_size: 0
    .sgpr_count:     32
    .sgpr_spill_count: 0
    .symbol:         fft_rtc_fwd_len546_factors_13_3_7_2_wgs_117_tpt_39_halfLds_sp_op_CI_CI_unitstride_sbrr_R2C_dirReg.kd
    .uniform_work_group_size: 1
    .uses_dynamic_stack: false
    .vgpr_count:     130
    .vgpr_spill_count: 0
    .wavefront_size: 64
amdhsa.target:   amdgcn-amd-amdhsa--gfx906
amdhsa.version:
  - 1
  - 2
...

	.end_amdgpu_metadata
